;; amdgpu-corpus repo=ROCm/aiter kind=harvested arch=n/a opt=n/a

/root/src/amdgpu-assembly/repos/ROCm__aiter/hsa/gfx950/f8_block_scale_mi350_x96.co:	file format elf64-amdgpu

Disassembly of section .text:

0000000000002900 <f8_block_scale_mi350_x96>:
	s_and_b32 s1, s1, 0xffff                                   // 000000002900: 8601FF01 0000FFFF
	s_load_dwordx2 s[8:9], s[0:1], 0x0                         // 000000002908: C0060200 00000000
	s_load_dwordx2 s[20:21], s[0:1], 0x10                      // 000000002910: C0060500 00000010
	s_load_dwordx2 s[24:25], s[0:1], 0x20                      // 000000002918: C0060600 00000020
	s_load_dwordx2 s[28:29], s[0:1], 0x40                      // 000000002920: C0060700 00000040
	s_load_dwordx2 s[32:33], s[0:1], 0x50                      // 000000002928: C0060800 00000050
	s_mov_b32 s75, 0                                           // 000000002930: BECB0080
	s_load_dword s60, s[0:1], 0x90                             // 000000002934: C0020F00 00000090
	s_load_dword s61, s[0:1], 0xa0                             // 00000000293C: C0020F40 000000A0
	s_load_dword s62, s[0:1], 0xb0                             // 000000002944: C0020F80 000000B0
	s_load_dword s63, s[0:1], 0xc0                             // 00000000294C: C0020FC0 000000C0
	s_load_dword s64, s[0:1], 0xd0                             // 000000002954: C0021000 000000D0
	s_load_dword s65, s[0:1], 0xe0                             // 00000000295C: C0021040 000000E0
	s_load_dword s66, s[0:1], 0xf0                             // 000000002964: C0021080 000000F0
	s_load_dword s74, s[0:1], 0x140                            // 00000000296C: C0021280 00000140
	s_load_dword s75, s[0:1], 0x150                            // 000000002974: C00212C0 00000150
	v_lshrrev_b32_e32 v1, 10, v0                               // 00000000297C: 2002008A
	v_lshrrev_b32_e32 v2, 10, v1                               // 000000002980: 2004028A
	v_and_b32_e32 v2, 0x3ff, v2                                // 000000002984: 260404FF 000003FF
	v_and_b32_e32 v1, 0x3ff, v1                                // 00000000298C: 260202FF 000003FF
	v_and_b32_e32 v0, 0x3ff, v0                                // 000000002994: 260000FF 000003FF
	v_lshrrev_b32_e32 v3, 6, v0                                // 00000000299C: 20060086
	v_and_b32_e32 v0, 63, v0                                   // 0000000029A0: 260000BF
	s_mov_b32 s2, s2                                           // 0000000029A4: BE820002
	s_mov_b32 s3, s3                                           // 0000000029A8: BE830003
	s_mov_b32 s4, s4                                           // 0000000029AC: BE840004
	v_readfirstlane_b32 s7, v3                                 // 0000000029B0: 7E0E0503
	s_waitcnt lgkmcnt(0)                                       // 0000000029B4: BF8CC07F
	s_mov_b32 s46, s62                                         // 0000000029B8: BEAE003E
	s_and_b32 s9, s9, 0xffff                                   // 0000000029BC: 8609FF09 0000FFFF
	s_mul_i32 s52, s62, s64                                    // 0000000029C4: 9234403E
	s_mul_i32 s53, s62, 4                                      // 0000000029C8: 9235843E
	s_mov_b32 s22, s52                                         // 0000000029CC: BE960034
	s_mul_i32 s52, s60, s61                                    // 0000000029D0: 92343D3C
	s_mov_b32 s26, s52                                         // 0000000029D4: BE9A0034
	s_mov_b32 s30, s53                                         // 0000000029D8: BE9E0035
	s_mov_b32 s10, -16                                         // 0000000029DC: BE8A00D0
	s_lshr_b32 s52, s60, 7                                     // 0000000029E0: 8F34873C
	s_mul_i32 s53, s52, 4                                      // 0000000029E4: 92358434
	s_lshr_b32 s52, s61, 7                                     // 0000000029E8: 8F34873D
	s_mul_i32 s52, s52, s53                                    // 0000000029EC: 92343534
	s_mov_b32 s34, s52                                         // 0000000029F0: BEA20034
	s_mov_b32 s23, 0x20000                                     // 0000000029F4: BE9700FF 00020000
	s_mov_b32 s27, 0x20000                                     // 0000000029FC: BE9B00FF 00020000
	s_mov_b32 s31, 0x20000                                     // 000000002A04: BE9F00FF 00020000
	s_mov_b32 s35, 0x20000                                     // 000000002A0C: BEA300FF 00020000
	s_mov_b32 s11, 0x20000                                     // 000000002A14: BE8B00FF 00020000
	s_and_b32 s21, s21, 0xffff                                 // 000000002A1C: 8615FF15 0000FFFF
	s_and_b32 s25, s25, 0xffff                                 // 000000002A24: 8619FF19 0000FFFF
	s_and_b32 s29, s29, 0xffff                                 // 000000002A2C: 861DFF1D 0000FFFF
	s_and_b32 s33, s33, 0xffff                                 // 000000002A34: 8621FF21 0000FFFF
	s_or_b32 s21, s21, 0x40000                                 // 000000002A3C: 8715FF15 00040000
	s_or_b32 s25, s25, 0x40000                                 // 000000002A44: 8719FF19 00040000
	s_or_b32 s29, s29, 0x40000                                 // 000000002A4C: 871DFF1D 00040000
	s_or_b32 s33, s33, 0x40000                                 // 000000002A54: 8721FF21 00040000
	v_accvgpr_write_b32 a127, 0                                // 000000002A5C: D3D9407F 18000080
	v_mov_b32_e32 v151, 0                                      // 000000002A64: 7F2E0280
	s_waitcnt lgkmcnt(0)                                       // 000000002A68: BF8CC07F
	s_mul_i32 s52, s3, 0x60                                    // 000000002A6C: 9234FF03 00000060
	s_cmp_lt_i32 s52, s46                                      // 000000002A74: BF042E34
	s_cbranch_scc0 label_18F7                                  // 000000002A78: BF841895
	s_mov_b32 s70, 0                                           // 000000002A7C: BEC60080
	s_lshr_b32 s71, s60, s74                                   // 000000002A80: 8F474A3C
	s_mul_i32 s52, s3, 0x60                                    // 000000002A84: 9234FF03 00000060
	v_and_b32_e32 v4, 15, v0                                   // 000000002A8C: 2608008F
	v_add_u32_e64 v24, v4, s52                                 // 000000002A90: D1340018 00006904
	v_add_u32_e32 v4, 16, v4                                   // 000000002A98: 68080890
	v_add_u32_e64 v25, v4, s52                                 // 000000002A9C: D1340019 00006904
	v_add_u32_e32 v4, 16, v4                                   // 000000002AA4: 68080890
	v_add_u32_e64 v26, v4, s52                                 // 000000002AA8: D134001A 00006904
	v_add_u32_e32 v4, 16, v4                                   // 000000002AB0: 68080890
	v_add_u32_e64 v27, v4, s52                                 // 000000002AB4: D134001B 00006904
	v_add_u32_e32 v4, 16, v4                                   // 000000002ABC: 68080890
	v_add_u32_e64 v28, v4, s52                                 // 000000002AC0: D134001C 00006904
	v_add_u32_e32 v4, 16, v4                                   // 000000002AC8: 68080890
	v_add_u32_e64 v29, v4, s52                                 // 000000002ACC: D134001D 00006904
	v_add_u32_e32 v4, 16, v4                                   // 000000002AD4: 68080890
	v_lshlrev_b32_e32 v4, 2, v0                                // 000000002AD8: 24080082
	v_add_u32_e32 v4, s7, v4                                   // 000000002ADC: 68080807
	v_add_u32_e32 v4, s52, v4                                  // 000000002AE0: 68080834
	v_mov_b32_e32 v3, v4                                       // 000000002AE4: 7E060304
	s_lshr_b32 s53, s7, 1                                      // 000000002AE8: 8F358107
	s_mul_i32 s53, s53, 8                                      // 000000002AEC: 92358835
	s_add_u32 s52, s53, s52                                    // 000000002AF0: 80343435
	s_and_b32 s53, s7, 1                                       // 000000002AF4: 86358107
	s_mul_i32 s53, s53, 2                                      // 000000002AF8: 92358235
	s_add_u32 s52, s53, s52                                    // 000000002AFC: 80343435
	v_lshrrev_b32_e32 v4, 3, v0                                // 000000002B00: 20080083
	v_mul_u32_u24_e32 v7, 32, v4                               // 000000002B04: 100E08A0
	v_and_b32_e32 v4, 7, v0                                    // 000000002B08: 26080087
	v_lshrrev_b32_e32 v4, 2, v4                                // 000000002B0C: 20080882
	v_mul_u32_u24_e32 v4, 16, v4                               // 000000002B10: 10080890
	v_add_u32_e32 v7, v7, v4                                   // 000000002B14: 680E0907
	v_and_b32_e32 v4, 3, v0                                    // 000000002B18: 26080083
	v_lshrrev_b32_e32 v4, 1, v4                                // 000000002B1C: 20080881
	v_mul_u32_u24_e32 v4, 4, v4                                // 000000002B20: 10080884
	v_add_u32_e32 v7, v7, v4                                   // 000000002B24: 680E0907
	v_and_b32_e32 v4, 1, v0                                    // 000000002B28: 26080081
	v_add_u32_e32 v7, v7, v4                                   // 000000002B2C: 680E0907
	v_add_u32_e32 v7, s52, v7                                  // 000000002B30: 680E0E34
	v_mov_b32_e32 v53, v7                                      // 000000002B34: 7E6A0307
	v_mov_b32_e32 v56, 0                                       // 000000002B38: 7E700280
	v_mov_b32_e32 v104, 0                                      // 000000002B3C: 7ED00280
	v_mov_b32_e32 v57, 0                                       // 000000002B40: 7E720280
	v_mov_b32_e32 v105, 0                                      // 000000002B44: 7ED20280
	v_mov_b32_e32 v58, 0                                       // 000000002B48: 7E740280
	v_mov_b32_e32 v106, 0                                      // 000000002B4C: 7ED40280
	v_mov_b32_e32 v59, 0                                       // 000000002B50: 7E760280
	v_mov_b32_e32 v107, 0                                      // 000000002B54: 7ED60280
	v_mov_b32_e32 v60, 0                                       // 000000002B58: 7E780280
	v_mov_b32_e32 v108, 0                                      // 000000002B5C: 7ED80280
	v_mov_b32_e32 v61, 0                                       // 000000002B60: 7E7A0280
	v_mov_b32_e32 v109, 0                                      // 000000002B64: 7EDA0280
	v_mov_b32_e32 v62, 0                                       // 000000002B68: 7E7C0280
	v_mov_b32_e32 v110, 0                                      // 000000002B6C: 7EDC0280
	v_mov_b32_e32 v63, 0                                       // 000000002B70: 7E7E0280
	v_mov_b32_e32 v111, 0                                      // 000000002B74: 7EDE0280
	v_mov_b32_e32 v64, 0                                       // 000000002B78: 7E800280
	v_mov_b32_e32 v112, 0                                      // 000000002B7C: 7EE00280
	v_mov_b32_e32 v65, 0                                       // 000000002B80: 7E820280
	v_mov_b32_e32 v113, 0                                      // 000000002B84: 7EE20280
	v_mov_b32_e32 v66, 0                                       // 000000002B88: 7E840280
	v_mov_b32_e32 v114, 0                                      // 000000002B8C: 7EE40280
	v_mov_b32_e32 v67, 0                                       // 000000002B90: 7E860280
	v_mov_b32_e32 v115, 0                                      // 000000002B94: 7EE60280
	v_mov_b32_e32 v68, 0                                       // 000000002B98: 7E880280
	v_mov_b32_e32 v116, 0                                      // 000000002B9C: 7EE80280
	v_mov_b32_e32 v69, 0                                       // 000000002BA0: 7E8A0280
	v_mov_b32_e32 v117, 0                                      // 000000002BA4: 7EEA0280
	v_mov_b32_e32 v70, 0                                       // 000000002BA8: 7E8C0280
	v_mov_b32_e32 v118, 0                                      // 000000002BAC: 7EEC0280
	v_mov_b32_e32 v71, 0                                       // 000000002BB0: 7E8E0280
	v_mov_b32_e32 v119, 0                                      // 000000002BB4: 7EEE0280
	v_mov_b32_e32 v72, 0                                       // 000000002BB8: 7E900280
	v_mov_b32_e32 v120, 0                                      // 000000002BBC: 7EF00280
	v_mov_b32_e32 v73, 0                                       // 000000002BC0: 7E920280
	v_mov_b32_e32 v121, 0                                      // 000000002BC4: 7EF20280
	v_mov_b32_e32 v74, 0                                       // 000000002BC8: 7E940280
	v_mov_b32_e32 v122, 0                                      // 000000002BCC: 7EF40280
	v_mov_b32_e32 v75, 0                                       // 000000002BD0: 7E960280
	v_mov_b32_e32 v123, 0                                      // 000000002BD4: 7EF60280
	v_mov_b32_e32 v76, 0                                       // 000000002BD8: 7E980280
	v_mov_b32_e32 v124, 0                                      // 000000002BDC: 7EF80280
	v_mov_b32_e32 v77, 0                                       // 000000002BE0: 7E9A0280
	v_mov_b32_e32 v125, 0                                      // 000000002BE4: 7EFA0280
	v_mov_b32_e32 v78, 0                                       // 000000002BE8: 7E9C0280
	v_mov_b32_e32 v126, 0                                      // 000000002BEC: 7EFC0280
	v_mov_b32_e32 v79, 0                                       // 000000002BF0: 7E9E0280
	v_mov_b32_e32 v127, 0                                      // 000000002BF4: 7EFE0280
	v_mov_b32_e32 v80, 0                                       // 000000002BF8: 7EA00280
	v_mov_b32_e32 v128, 0                                      // 000000002BFC: 7F000280
	v_mov_b32_e32 v81, 0                                       // 000000002C00: 7EA20280
	v_mov_b32_e32 v129, 0                                      // 000000002C04: 7F020280
	v_mov_b32_e32 v82, 0                                       // 000000002C08: 7EA40280
	v_mov_b32_e32 v130, 0                                      // 000000002C0C: 7F040280
	v_mov_b32_e32 v83, 0                                       // 000000002C10: 7EA60280
	v_mov_b32_e32 v131, 0                                      // 000000002C14: 7F060280
	v_mov_b32_e32 v84, 0                                       // 000000002C18: 7EA80280
	v_mov_b32_e32 v132, 0                                      // 000000002C1C: 7F080280
	v_mov_b32_e32 v85, 0                                       // 000000002C20: 7EAA0280
	v_mov_b32_e32 v133, 0                                      // 000000002C24: 7F0A0280
	v_mov_b32_e32 v86, 0                                       // 000000002C28: 7EAC0280
	v_mov_b32_e32 v134, 0                                      // 000000002C2C: 7F0C0280
	v_mov_b32_e32 v87, 0                                       // 000000002C30: 7EAE0280
	v_mov_b32_e32 v135, 0                                      // 000000002C34: 7F0E0280
	v_mov_b32_e32 v88, 0                                       // 000000002C38: 7EB00280
	v_mov_b32_e32 v136, 0                                      // 000000002C3C: 7F100280
	v_mov_b32_e32 v89, 0                                       // 000000002C40: 7EB20280
	v_mov_b32_e32 v137, 0                                      // 000000002C44: 7F120280
	v_mov_b32_e32 v90, 0                                       // 000000002C48: 7EB40280
	v_mov_b32_e32 v138, 0                                      // 000000002C4C: 7F140280
	v_mov_b32_e32 v91, 0                                       // 000000002C50: 7EB60280
	v_mov_b32_e32 v139, 0                                      // 000000002C54: 7F160280
	v_mov_b32_e32 v92, 0                                       // 000000002C58: 7EB80280
	v_mov_b32_e32 v140, 0                                      // 000000002C5C: 7F180280
	v_mov_b32_e32 v93, 0                                       // 000000002C60: 7EBA0280
	v_mov_b32_e32 v141, 0                                      // 000000002C64: 7F1A0280
	v_mov_b32_e32 v94, 0                                       // 000000002C68: 7EBC0280
	v_mov_b32_e32 v142, 0                                      // 000000002C6C: 7F1C0280
	v_mov_b32_e32 v95, 0                                       // 000000002C70: 7EBE0280
	v_mov_b32_e32 v143, 0                                      // 000000002C74: 7F1E0280
	v_mov_b32_e32 v96, 0                                       // 000000002C78: 7EC00280
	v_mov_b32_e32 v144, 0                                      // 000000002C7C: 7F200280
	v_mov_b32_e32 v97, 0                                       // 000000002C80: 7EC20280
	v_mov_b32_e32 v145, 0                                      // 000000002C84: 7F220280
	v_mov_b32_e32 v98, 0                                       // 000000002C88: 7EC40280
	v_mov_b32_e32 v146, 0                                      // 000000002C8C: 7F240280
	v_mov_b32_e32 v99, 0                                       // 000000002C90: 7EC60280
	v_mov_b32_e32 v147, 0                                      // 000000002C94: 7F260280
	v_mov_b32_e32 v100, 0                                      // 000000002C98: 7EC80280
	v_mov_b32_e32 v148, 0                                      // 000000002C9C: 7F280280
	v_mov_b32_e32 v101, 0                                      // 000000002CA0: 7ECA0280
	v_mov_b32_e32 v149, 0                                      // 000000002CA4: 7F2A0280
	v_mov_b32_e32 v102, 0                                      // 000000002CA8: 7ECC0280
	v_mov_b32_e32 v150, 0                                      // 000000002CAC: 7F2C0280
	v_mov_b32_e32 v103, 0                                      // 000000002CB0: 7ECE0280
	v_mov_b32_e32 v151, 0                                      // 000000002CB4: 7F2E0280
	s_mul_i32 s52, s2, 0x200                                   // 000000002CB8: 9234FF02 00000200
	s_cmp_eq_u32 s74, 0                                        // 000000002CC0: BF06804A
	s_cselect_b32 s53, 1, 2                                    // 000000002CC4: 85358281
	s_mul_i32 s52, s52, s53                                    // 000000002CC8: 92343534
	s_mov_b32 s80, s8                                          // 000000002CCC: BED00008
	s_mov_b32 s81, s9                                          // 000000002CD0: BED10009
	s_add_u32 s8, s52, s8                                      // 000000002CD4: 80080834
	s_addc_u32 s9, 0, s9                                       // 000000002CD8: 82090980
	v_lshrrev_b32_e32 v4, 4, v0                                // 000000002CDC: 20080084
	v_mul_lo_u32 v16, 34, v4                                   // 000000002CE0: D2850010 000208A2
	v_and_b32_e32 v4, 15, v0                                   // 000000002CE8: 2608008F
	v_mul_lo_u32 v5, 2, v4                                     // 000000002CEC: D2850005 00020882
	v_add_u32_e32 v16, v5, v16                                 // 000000002CF4: 68202105
	s_mul_i32 s52, s7, 0x88                                    // 000000002CF8: 9234FF07 00000088
	v_add_u32_e32 v16, s52, v16                                // 000000002D00: 68202034
	v_lshlrev_b32_e32 v16, 2, v16                              // 000000002D04: 24202082
	v_and_b32_e32 v4, 31, v0                                   // 000000002D08: 2608009F
	v_lshrrev_b32_e32 v4, 1, v4                                // 000000002D0C: 20080881
	v_mul_lo_u32 v17, 34, v4                                   // 000000002D10: D2850011 000208A2
	v_lshrrev_b32_e32 v4, 5, v0                                // 000000002D18: 20080085
	v_mul_lo_u32 v4, 8, v4                                     // 000000002D1C: D2850004 00020888
	v_add_u32_e32 v17, v17, v4                                 // 000000002D24: 68220911
	v_and_b32_e32 v5, 1, v0                                    // 000000002D28: 260A0081
	v_add_u32_e32 v17, v5, v17                                 // 000000002D2C: 68222305
	s_mul_i32 s52, s7, 2                                       // 000000002D30: 92348207
	v_add_u32_e32 v17, s52, v17                                // 000000002D34: 68222234
	v_lshlrev_b32_e32 v17, 2, v17                              // 000000002D38: 24222282
	s_mul_i32 s52, s7, 0xc20                                   // 000000002D3C: 9234FF07 00000C20
	s_add_u32 s46, 0, s52                                      // 000000002D44: 802E3480
	s_add_u32 s47, 0x3080, s46                                 // 000000002D48: 802F2EFF 00003080
	v_and_b32_e32 v4, 15, v0                                   // 000000002D50: 2608008F
	v_lshrrev_b32_e32 v5, 3, v4                                // 000000002D54: 200A0883
	v_mul_i32_i24_e32 v5, 2, v5                                // 000000002D58: 0C0A0A82
	v_and_b32_e32 v4, 3, v0                                    // 000000002D5C: 26080083
	v_lshrrev_b32_e32 v6, 1, v4                                // 000000002D60: 200C0881
	v_add_u32_e32 v4, v5, v6                                   // 000000002D64: 68080D05
	v_mul_i32_i24_e32 v2, 0xc20, v4                            // 000000002D68: 0C0408FF 00000C20
	v_and_b32_e32 v4, 7, v0                                    // 000000002D70: 26080087
	v_lshrrev_b32_e32 v5, 2, v4                                // 000000002D74: 200A0882
	v_mul_i32_i24_e32 v5, 0x100, v5                            // 000000002D78: 0C0A0AFF 00000100
	v_and_b32_e32 v4, 1, v0                                    // 000000002D80: 26080081
	v_mul_i32_i24_e32 v6, 0x80, v4                             // 000000002D84: 0C0C08FF 00000080
	v_add_u32_e32 v2, v5, v2                                   // 000000002D8C: 68040505
	v_add_u32_e32 v2, v6, v2                                   // 000000002D90: 68040506
	v_lshrrev_b32_e32 v4, 4, v0                                // 000000002D94: 20080084
	v_mul_i32_i24_e32 v4, 16, v4                               // 000000002D98: 0C080890
	v_add_u32_e32 v2, v4, v2                                   // 000000002D9C: 68040504
	s_waitcnt lgkmcnt(0)                                       // 000000002DA0: BF8CC07F
	s_mul_i32 s52, s2, 0x100                                   // 000000002DA4: 9234FF02 00000100
	s_mul_i32 s52, s52, s65                                    // 000000002DAC: 92344134
	s_add_u32 s24, s52, s24                                    // 000000002DB0: 80181834
	s_addc_u32 s25, 0, s25                                     // 000000002DB4: 82191980
	s_lshr_b32 s52, s60, s74                                   // 000000002DB8: 8F344A3C
	s_mul_i32 s52, s4, s52                                     // 000000002DBC: 92343404
	s_lshr_b32 s52, s52, 7                                     // 000000002DC0: 8F348734
	s_mul_i32 s52, s52, 0x800                                  // 000000002DC4: 9234FF34 00000800
	s_add_u32 s24, s52, s24                                    // 000000002DCC: 80181834
	s_addc_u32 s25, 0, s25                                     // 000000002DD0: 82191980
	s_lshr_b32 s52, s65, s74                                   // 000000002DD4: 8F344A41
	s_mul_i32 s52, s4, s52                                     // 000000002DD8: 92343404
	s_add_u32 s20, s52, s20                                    // 000000002DDC: 80141434
	s_addc_u32 s21, 0, s21                                     // 000000002DE0: 82151580
	s_mul_i32 s52, s7, 16                                      // 000000002DE4: 92349007
	s_mul_i32 s52, s52, s65                                    // 000000002DE8: 92344134
	v_lshlrev_b32_e32 v51, 4, v0                               // 000000002DEC: 24660084
	v_add_u32_e32 v51, s52, v51                                // 000000002DF0: 68666634
	s_mul_i32 s52, 64, s65                                     // 000000002DF4: 923441C0
	v_add_u32_e32 v52, s52, v51                                // 000000002DF8: 68686634
	s_mov_b32 s76, s24                                         // 000000002DFC: BECC0018
	s_mov_b32 s77, s25                                         // 000000002E00: BECD0019
	s_mov_b32 s78, s26                                         // 000000002E04: BECE001A
	s_mov_b32 s79, s27                                         // 000000002E08: BECF001B
	s_lshl_b32 s52, s65, 7                                     // 000000002E0C: 8E348741
	s_add_u32 s76, s52, s76                                    // 000000002E10: 804C4C34
	s_addc_u32 s77, 0, s77                                     // 000000002E14: 824D4D80
	s_lshr_b32 s52, s60, 7                                     // 000000002E18: 8F34873C
	s_mul_i32 s53, s52, 4                                      // 000000002E1C: 92358434
	v_and_b32_e32 v18, 0, v0                                   // 000000002E20: 26240080
	v_mul_lo_u32 v18, v18, s53                                 // 000000002E24: D2850012 00006B12
	s_lshr_b32 s52, s60, 7                                     // 000000002E2C: 8F34873C
	s_mul_i32 s52, s52, 4                                      // 000000002E30: 92348434
	v_add_u32_e64 v19, v18, s52                                // 000000002E34: D1340013 00006912
	s_mul_i32 s52, s2, 2                                       // 000000002E3C: 92348202
	s_mul_i32 s52, s52, s53                                    // 000000002E40: 92343534
	s_add_u32 s32, s52, s32                                    // 000000002E44: 80202034
	s_addc_u32 s33, 0, s33                                     // 000000002E48: 82212180
	s_lshr_b32 s52, s60, 7                                     // 000000002E4C: 8F34873C
	s_lshr_b32 s52, s52, s74                                   // 000000002E50: 8F344A34
	s_mul_i32 s52, s4, s52                                     // 000000002E54: 92343404
	s_mul_i32 s53, s52, 4                                      // 000000002E58: 92358434
	s_add_u32 s32, s53, s32                                    // 000000002E5C: 80202035
	s_addc_u32 s33, 0, s33                                     // 000000002E60: 82212180
	s_lshl_b32 s54, s62, 2                                     // 000000002E64: 8E36823E
	s_mul_i32 s54, s52, s54                                    // 000000002E68: 92363634
	s_add_u32 s28, s54, s28                                    // 000000002E6C: 801C1C36
	s_addc_u32 s29, 0, s29                                     // 000000002E70: 821D1D80
	s_mov_b32 s4, 4                                            // 000000002E74: BE840084
	s_mov_b32 s57, 0x80                                        // 000000002E78: BEB900FF 00000080
	s_mov_b32 s58, 0x800                                       // 000000002E80: BEBA00FF 00000800
	s_lshl_b32 s73, s65, 7                                     // 000000002E88: 8E498741
	s_mov_b32 m0, s46                                          // 000000002E8C: BEFC002E
	s_waitcnt vmcnt(0) expcnt(0) lgkmcnt(0)                    // 000000002E90: BF8C0000
	s_mov_b32 s54, -1                                          // 000000002E94: BEB600C1
	s_mov_b32 s55, -1                                          // 000000002E98: BEB700C1
	s_mov_b32 s16, 0                                           // 000000002E9C: BE900080
	s_mov_b32 s17, 0                                           // 000000002EA0: BE910080
	v_readlane_b32 s72, v53, 0                                 // 000000002EA4: D2890048 00010135
	s_mul_i32 s52, s72, s64                                    // 000000002EAC: 92344048
	s_lshl_b32 s16, 0xff, 0                                    // 000000002EB0: 8E1080FF 000000FF
	s_mov_b32 s17, 0                                           // 000000002EB8: BE910080
	s_mov_b64 exec, s[16:17]                                   // 000000002EBC: BEFE0110
	v_mov_b32_e32 v48, s52                                     // 000000002EC0: 7E600234
	s_mov_b64 exec, s[54:55]                                   // 000000002EC4: BEFE0136
	v_readlane_b32 s72, v53, 1                                 // 000000002EC8: D2890048 00010335
	s_mul_i32 s52, s72, s64                                    // 000000002ED0: 92344048
	s_lshl_b32 s16, 0xff, 8                                    // 000000002ED4: 8E1088FF 000000FF
	s_mov_b64 exec, s[16:17]                                   // 000000002EDC: BEFE0110
	v_mov_b32_e32 v48, s52                                     // 000000002EE0: 7E600234
	s_mov_b64 exec, s[54:55]                                   // 000000002EE4: BEFE0136
	v_readlane_b32 s72, v53, 2                                 // 000000002EE8: D2890048 00010535
	s_mul_i32 s52, s72, s64                                    // 000000002EF0: 92344048
	s_lshl_b32 s16, 0xff, 16                                   // 000000002EF4: 8E1090FF 000000FF
	s_mov_b64 exec, s[16:17]                                   // 000000002EFC: BEFE0110
	v_mov_b32_e32 v48, s52                                     // 000000002F00: 7E600234
	s_mov_b64 exec, s[54:55]                                   // 000000002F04: BEFE0136
	v_readlane_b32 s72, v53, 3                                 // 000000002F08: D2890048 00010735
	s_mul_i32 s52, s72, s64                                    // 000000002F10: 92344048
	s_lshl_b32 s16, 0xff, 24                                   // 000000002F14: 8E1098FF 000000FF
	s_mov_b64 exec, s[16:17]                                   // 000000002F1C: BEFE0110
	v_mov_b32_e32 v48, s52                                     // 000000002F20: 7E600234
	s_mov_b64 exec, s[54:55]                                   // 000000002F24: BEFE0136
	v_readlane_b32 s72, v53, 4                                 // 000000002F28: D2890048 00010935
	s_mul_i32 s52, s72, s64                                    // 000000002F30: 92344048
	s_lshl_b32 s17, 0xff, 0                                    // 000000002F34: 8E1180FF 000000FF
	s_mov_b32 s16, 0                                           // 000000002F3C: BE900080
	s_mov_b64 exec, s[16:17]                                   // 000000002F40: BEFE0110
	v_mov_b32_e32 v48, s52                                     // 000000002F44: 7E600234
	s_mov_b64 exec, s[54:55]                                   // 000000002F48: BEFE0136
	v_readlane_b32 s72, v53, 5                                 // 000000002F4C: D2890048 00010B35
	s_mul_i32 s52, s72, s64                                    // 000000002F54: 92344048
	s_lshl_b32 s17, 0xff, 8                                    // 000000002F58: 8E1188FF 000000FF
	s_mov_b64 exec, s[16:17]                                   // 000000002F60: BEFE0110
	v_mov_b32_e32 v48, s52                                     // 000000002F64: 7E600234
	s_mov_b64 exec, s[54:55]                                   // 000000002F68: BEFE0136
	v_readlane_b32 s72, v53, 6                                 // 000000002F6C: D2890048 00010D35
	s_mul_i32 s52, s72, s64                                    // 000000002F74: 92344048
	s_lshl_b32 s17, 0xff, 16                                   // 000000002F78: 8E1190FF 000000FF
	s_mov_b64 exec, s[16:17]                                   // 000000002F80: BEFE0110
	v_mov_b32_e32 v48, s52                                     // 000000002F84: 7E600234
	s_mov_b64 exec, s[54:55]                                   // 000000002F88: BEFE0136
	v_readlane_b32 s72, v53, 7                                 // 000000002F8C: D2890048 00010F35
	s_mul_i32 s52, s72, s64                                    // 000000002F94: 92344048
	s_lshl_b32 s17, 0xff, 24                                   // 000000002F98: 8E1198FF 000000FF
	s_mov_b64 exec, s[16:17]                                   // 000000002FA0: BEFE0110
	v_mov_b32_e32 v48, s52                                     // 000000002FA4: 7E600234
	s_mov_b64 exec, s[54:55]                                   // 000000002FA8: BEFE0136
	v_readlane_b32 s72, v53, 8                                 // 000000002FAC: D2890048 00011135
	s_mul_i32 s52, s72, s64                                    // 000000002FB4: 92344048
	s_lshl_b32 s16, 0xff, 0                                    // 000000002FB8: 8E1080FF 000000FF
	s_mov_b32 s17, 0                                           // 000000002FC0: BE910080
	s_mov_b64 exec, s[16:17]                                   // 000000002FC4: BEFE0110
	v_mov_b32_e32 v49, s52                                     // 000000002FC8: 7E620234
	s_mov_b64 exec, s[54:55]                                   // 000000002FCC: BEFE0136
	v_readlane_b32 s72, v53, 9                                 // 000000002FD0: D2890048 00011335
	s_mul_i32 s52, s72, s64                                    // 000000002FD8: 92344048
	s_lshl_b32 s16, 0xff, 8                                    // 000000002FDC: 8E1088FF 000000FF
	s_mov_b64 exec, s[16:17]                                   // 000000002FE4: BEFE0110
	v_mov_b32_e32 v49, s52                                     // 000000002FE8: 7E620234
	s_mov_b64 exec, s[54:55]                                   // 000000002FEC: BEFE0136
	v_readlane_b32 s72, v53, 10                                // 000000002FF0: D2890048 00011535
	s_mul_i32 s52, s72, s64                                    // 000000002FF8: 92344048
	s_lshl_b32 s16, 0xff, 16                                   // 000000002FFC: 8E1090FF 000000FF
	s_mov_b64 exec, s[16:17]                                   // 000000003004: BEFE0110
	v_mov_b32_e32 v49, s52                                     // 000000003008: 7E620234
	s_mov_b64 exec, s[54:55]                                   // 00000000300C: BEFE0136
	v_readlane_b32 s72, v53, 11                                // 000000003010: D2890048 00011735
	s_mul_i32 s52, s72, s64                                    // 000000003018: 92344048
	s_lshl_b32 s16, 0xff, 24                                   // 00000000301C: 8E1098FF 000000FF
	s_mov_b64 exec, s[16:17]                                   // 000000003024: BEFE0110
	v_mov_b32_e32 v49, s52                                     // 000000003028: 7E620234
	s_mov_b64 exec, s[54:55]                                   // 00000000302C: BEFE0136
	v_readlane_b32 s72, v53, 12                                // 000000003030: D2890048 00011935
	s_mul_i32 s52, s72, s64                                    // 000000003038: 92344048
	s_lshl_b32 s17, 0xff, 0                                    // 00000000303C: 8E1180FF 000000FF
	s_mov_b32 s16, 0                                           // 000000003044: BE900080
	s_mov_b64 exec, s[16:17]                                   // 000000003048: BEFE0110
	v_mov_b32_e32 v49, s52                                     // 00000000304C: 7E620234
	s_mov_b64 exec, s[54:55]                                   // 000000003050: BEFE0136
	v_readlane_b32 s72, v53, 13                                // 000000003054: D2890048 00011B35
	s_mul_i32 s52, s72, s64                                    // 00000000305C: 92344048
	s_lshl_b32 s17, 0xff, 8                                    // 000000003060: 8E1188FF 000000FF
	s_mov_b64 exec, s[16:17]                                   // 000000003068: BEFE0110
	v_mov_b32_e32 v49, s52                                     // 00000000306C: 7E620234
	s_mov_b64 exec, s[54:55]                                   // 000000003070: BEFE0136
	v_readlane_b32 s72, v53, 14                                // 000000003074: D2890048 00011D35
	s_mul_i32 s52, s72, s64                                    // 00000000307C: 92344048
	s_lshl_b32 s17, 0xff, 16                                   // 000000003080: 8E1190FF 000000FF
	s_mov_b64 exec, s[16:17]                                   // 000000003088: BEFE0110
	v_mov_b32_e32 v49, s52                                     // 00000000308C: 7E620234
	s_mov_b64 exec, s[54:55]                                   // 000000003090: BEFE0136
	v_readlane_b32 s72, v53, 15                                // 000000003094: D2890048 00011F35
	s_mul_i32 s52, s72, s64                                    // 00000000309C: 92344048
	s_lshl_b32 s17, 0xff, 24                                   // 0000000030A0: 8E1198FF 000000FF
	s_mov_b64 exec, s[16:17]                                   // 0000000030A8: BEFE0110
	v_mov_b32_e32 v49, s52                                     // 0000000030AC: 7E620234
	s_mov_b64 exec, s[54:55]                                   // 0000000030B0: BEFE0136
	v_readlane_b32 s72, v53, 16                                // 0000000030B4: D2890048 00012135
	s_mul_i32 s52, s72, s64                                    // 0000000030BC: 92344048
	s_lshl_b32 s16, 0xff, 0                                    // 0000000030C0: 8E1080FF 000000FF
	s_mov_b32 s17, 0                                           // 0000000030C8: BE910080
	s_mov_b64 exec, s[16:17]                                   // 0000000030CC: BEFE0110
	v_mov_b32_e32 v50, s52                                     // 0000000030D0: 7E640234
	s_mov_b64 exec, s[54:55]                                   // 0000000030D4: BEFE0136
	v_readlane_b32 s72, v53, 17                                // 0000000030D8: D2890048 00012335
	s_mul_i32 s52, s72, s64                                    // 0000000030E0: 92344048
	s_lshl_b32 s16, 0xff, 8                                    // 0000000030E4: 8E1088FF 000000FF
	s_mov_b64 exec, s[16:17]                                   // 0000000030EC: BEFE0110
	v_mov_b32_e32 v50, s52                                     // 0000000030F0: 7E640234
	s_mov_b64 exec, s[54:55]                                   // 0000000030F4: BEFE0136
	v_readlane_b32 s72, v53, 18                                // 0000000030F8: D2890048 00012535
	s_mul_i32 s52, s72, s64                                    // 000000003100: 92344048
	s_lshl_b32 s16, 0xff, 16                                   // 000000003104: 8E1090FF 000000FF
	s_mov_b64 exec, s[16:17]                                   // 00000000310C: BEFE0110
	v_mov_b32_e32 v50, s52                                     // 000000003110: 7E640234
	s_mov_b64 exec, s[54:55]                                   // 000000003114: BEFE0136
	v_readlane_b32 s72, v53, 19                                // 000000003118: D2890048 00012735
	s_mul_i32 s52, s72, s64                                    // 000000003120: 92344048
	s_lshl_b32 s16, 0xff, 24                                   // 000000003124: 8E1098FF 000000FF
	s_mov_b64 exec, s[16:17]                                   // 00000000312C: BEFE0110
	v_mov_b32_e32 v50, s52                                     // 000000003130: 7E640234
	s_mov_b64 exec, s[54:55]                                   // 000000003134: BEFE0136
	v_readlane_b32 s72, v53, 20                                // 000000003138: D2890048 00012935
	s_mul_i32 s52, s72, s64                                    // 000000003140: 92344048
	s_lshl_b32 s17, 0xff, 0                                    // 000000003144: 8E1180FF 000000FF
	s_mov_b32 s16, 0                                           // 00000000314C: BE900080
	s_mov_b64 exec, s[16:17]                                   // 000000003150: BEFE0110
	v_mov_b32_e32 v50, s52                                     // 000000003154: 7E640234
	s_mov_b64 exec, s[54:55]                                   // 000000003158: BEFE0136
	v_readlane_b32 s72, v53, 21                                // 00000000315C: D2890048 00012B35
	s_mul_i32 s52, s72, s64                                    // 000000003164: 92344048
	s_lshl_b32 s17, 0xff, 8                                    // 000000003168: 8E1188FF 000000FF
	s_mov_b64 exec, s[16:17]                                   // 000000003170: BEFE0110
	v_mov_b32_e32 v50, s52                                     // 000000003174: 7E640234
	s_mov_b64 exec, s[54:55]                                   // 000000003178: BEFE0136
	v_readlane_b32 s72, v53, 22                                // 00000000317C: D2890048 00012D35
	s_mul_i32 s52, s72, s64                                    // 000000003184: 92344048
	s_lshl_b32 s17, 0xff, 16                                   // 000000003188: 8E1190FF 000000FF
	s_mov_b64 exec, s[16:17]                                   // 000000003190: BEFE0110
	v_mov_b32_e32 v50, s52                                     // 000000003194: 7E640234
	s_mov_b64 exec, s[54:55]                                   // 000000003198: BEFE0136
	v_readlane_b32 s72, v53, 23                                // 00000000319C: D2890048 00012F35
	s_mul_i32 s52, s72, s64                                    // 0000000031A4: 92344048
	s_lshl_b32 s17, 0xff, 24                                   // 0000000031A8: 8E1198FF 000000FF
	s_mov_b64 exec, s[16:17]                                   // 0000000031B0: BEFE0110
	v_mov_b32_e32 v50, s52                                     // 0000000031B4: 7E640234
	s_mov_b64 exec, s[54:55]                                   // 0000000031B8: BEFE0136
	v_and_b32_e64 v4, v0, 7                                    // 0000000031BC: D1130004 00010F00
	v_lshlrev_b32_e32 v4, 4, v4                                // 0000000031C4: 24080884
	v_add_u32_e32 v48, v48, v4                                 // 0000000031C8: 68600930
	v_add_u32_e32 v49, v49, v4                                 // 0000000031CC: 68620931
	v_add_u32_e32 v50, v50, v4                                 // 0000000031D0: 68640932
	v_lshlrev_b32_e32 v24, 2, v24                              // 0000000031D4: 24303082
	v_lshlrev_b32_e32 v25, 2, v25                              // 0000000031D8: 24323282
	v_lshlrev_b32_e32 v26, 2, v26                              // 0000000031DC: 24343482
	v_lshlrev_b32_e32 v27, 2, v27                              // 0000000031E0: 24363682
	v_lshlrev_b32_e32 v28, 2, v28                              // 0000000031E4: 24383882
	v_lshlrev_b32_e32 v29, 2, v29                              // 0000000031E8: 243A3A82
	s_lshl_b32 s6, s62, 2                                      // 0000000031EC: 8E06823E
	buffer_load_dwordx4 v48, s[20:23], 0 offen lds             // 0000000031F0: E05D1000 80050030
	s_add_u32 m0, 0x400, s46                                   // 0000000031F8: 807C2EFF 00000400
	buffer_load_dwordx4 v49, s[20:23], 0 offen lds             // 000000003200: E05D1000 80050031
	s_add_u32 m0, 0x800, s46                                   // 000000003208: 807C2EFF 00000800
	buffer_load_dwordx4 v50, s[20:23], 0 offen lds             // 000000003210: E05D1000 80050032
	s_add_u32 m0, 0, s47                                       // 000000003218: 807C2F80
	s_add_u32 s20, s57, s20                                    // 00000000321C: 80141439
	s_addc_u32 s21, 0, s21                                     // 000000003220: 82151580
	buffer_load_dword v30, v24, s[28:31], 0 offen              // 000000003224: E0501000 80071E18
	buffer_load_dword v31, v25, s[28:31], 0 offen              // 00000000322C: E0501000 80071F19
	buffer_load_dword v32, v26, s[28:31], 0 offen              // 000000003234: E0501000 8007201A
	buffer_load_dword v33, v27, s[28:31], 0 offen              // 00000000323C: E0501000 8007211B
	buffer_load_dword v34, v28, s[28:31], 0 offen              // 000000003244: E0501000 8007221C
	buffer_load_dword v35, v29, s[28:31], 0 offen              // 00000000324C: E0501000 8007231D
	s_add_u32 s28, s6, s28                                     // 000000003254: 801C1C06
	s_addc_u32 s29, 0, s29                                     // 000000003258: 821D1D80
	buffer_load_dwordx4 v48, s[20:23], 0 offen lds             // 00000000325C: E05D1000 80050030
	s_add_u32 m0, 0x400, s47                                   // 000000003264: 807C2FFF 00000400
	buffer_load_dwordx4 v49, s[20:23], 0 offen lds             // 00000000326C: E05D1000 80050031
	s_add_u32 m0, 0x800, s47                                   // 000000003274: 807C2FFF 00000800
	buffer_load_dwordx4 v50, s[20:23], 0 offen lds             // 00000000327C: E05D1000 80050032
	s_add_u32 m0, 0, s46                                       // 000000003284: 807C2E80
	s_add_u32 s20, s57, s20                                    // 000000003288: 80141439
	s_addc_u32 s21, 0, s21                                     // 00000000328C: 82151580
	buffer_load_dword v36, v24, s[28:31], 0 offen              // 000000003290: E0501000 80072418
	buffer_load_dword v37, v25, s[28:31], 0 offen              // 000000003298: E0501000 80072519
	buffer_load_dword v38, v26, s[28:31], 0 offen              // 0000000032A0: E0501000 8007261A
	buffer_load_dword v39, v27, s[28:31], 0 offen              // 0000000032A8: E0501000 8007271B
	buffer_load_dword v40, v28, s[28:31], 0 offen              // 0000000032B0: E0501000 8007281C
	buffer_load_dword v41, v29, s[28:31], 0 offen              // 0000000032B8: E0501000 8007291D
	s_add_u32 s28, s6, s28                                     // 0000000032C0: 801C1C06
	s_addc_u32 s29, 0, s29                                     // 0000000032C4: 821D1D80
	buffer_load_dword v20, v18, s[32:35], 0 offen              // 0000000032C8: E0501000 80081412
	buffer_load_dwordx4 a[96:99], v51, s[24:27], 0 offen       // 0000000032D0: E05C1000 80866033
	buffer_load_dwordx4 a[100:103], v51, s[24:27], 0 offen offset:1024// 0000000032D8: E05C1400 80866433
	buffer_load_dwordx4 a[104:107], v52, s[24:27], 0 offen     // 0000000032E0: E05C1000 80866834
	buffer_load_dwordx4 a[108:111], v52, s[24:27], 0 offen offset:1024// 0000000032E8: E05C1400 80866C34
	s_add_u32 s24, s58, s24                                    // 0000000032F0: 8018183A
	s_addc_u32 s25, 0, s25                                     // 0000000032F4: 82191980
	s_waitcnt vmcnt(20)                                        // 0000000032F8: BF8C4F74
	s_barrier                                                  // 0000000032FC: BF8A0000
	ds_read_b128 a[0:3], v2                                    // 000000003300: DBFE0000 00000002
	ds_read_b128 a[4:7], v2 offset:64                          // 000000003308: DBFE0040 04000002
	ds_read_b128 a[8:11], v2 offset:512                        // 000000003310: DBFE0200 08000002
	ds_read_b128 a[12:15], v2 offset:576                       // 000000003318: DBFE0240 0C000002
	ds_read_b128 a[16:19], v2 offset:1024                      // 000000003320: DBFE0400 10000002
	ds_read_b128 a[20:23], v2 offset:1088                      // 000000003328: DBFE0440 14000002
	ds_read_b128 a[24:27], v2 offset:1536                      // 000000003330: DBFE0600 18000002
	ds_read_b128 a[28:31], v2 offset:1600                      // 000000003338: DBFE0640 1C000002
	ds_read_b128 a[32:35], v2 offset:2048                      // 000000003340: DBFE0800 20000002
	ds_read_b128 a[36:39], v2 offset:2112                      // 000000003348: DBFE0840 24000002
	ds_read_b128 a[40:43], v2 offset:2560                      // 000000003350: DBFE0A00 28000002
	ds_read_b128 a[44:47], v2 offset:2624                      // 000000003358: DBFE0A40 2C000002
	s_cmp_lt_i32 s7, 2                                         // 000000003360: BF048207
	s_cbranch_scc0 label_0DCA                                  // 000000003364: BF840B2D

0000000000003368 <label_029A>:
	s_waitcnt vmcnt(2) lgkmcnt(0)                              // 000000003368: BF8C0072
	s_barrier                                                  // 00000000336C: BF8A0000
	v_mov_b32_e32 v42, v30                                     // 000000003370: 7E54031E
	v_mov_b32_e32 v43, v31                                     // 000000003374: 7E56031F
	v_mov_b32_e32 v44, v32                                     // 000000003378: 7E580320
	v_mov_b32_e32 v45, v33                                     // 00000000337C: 7E5A0321
	v_mov_b32_e32 v46, v34                                     // 000000003380: 7E5C0322
	v_mov_b32_e32 v47, v35                                     // 000000003384: 7E5E0323
	v_mul_f32_dpp v4, v20, v42 row_newbcast:0 row_mask:0xf bank_mask:0xf// 000000003388: 0A0854FA FF015014
	v_mfma_f32_16x16x128_f8f6f4 v[8:11], a[96:103], a[0:7], 0  // 000000003390: D3AD0008 1A020160
	buffer_load_dword v23, v19, s[32:35], 0 offen              // 000000003398: E0501000 80081713
	v_mul_f32_dpp v6, v20, v43 row_newbcast:0 row_mask:0xf bank_mask:0xf// 0000000033A0: 0A0C56FA FF015014
	v_mfma_f32_16x16x128_f8f6f4 v[12:15], a[96:103], a[8:15], 0// 0000000033A8: D3AD000C 1A021160
	buffer_load_dwordx4 a[112:115], v51, s[76:79], 0 offen     // 0000000033B0: E05C1000 80937033
	s_nop 5                                                    // 0000000033B8: BF800005
	v_fma_f32 v56, v8, v4, v56                                 // 0000000033BC: D1CB0038 04E20908
	v_fma_f32 v57, v9, v4, v57                                 // 0000000033C4: D1CB0039 04E60909
	v_fma_f32 v58, v10, v4, v58                                // 0000000033CC: D1CB003A 04EA090A
	v_fma_f32 v59, v11, v4, v59                                // 0000000033D4: D1CB003B 04EE090B
	v_mul_f32_dpp v4, v20, v44 row_newbcast:0 row_mask:0xf bank_mask:0xf// 0000000033DC: 0A0858FA FF015014
	v_mfma_f32_16x16x128_f8f6f4 v[8:11], a[96:103], a[16:23], 0// 0000000033E4: D3AD0008 1A022160
	s_nop 5                                                    // 0000000033EC: BF800005
	v_fma_f32 v60, v12, v6, v60                                // 0000000033F0: D1CB003C 04F20D0C
	v_fma_f32 v61, v13, v6, v61                                // 0000000033F8: D1CB003D 04F60D0D
	v_fma_f32 v62, v14, v6, v62                                // 000000003400: D1CB003E 04FA0D0E
	v_fma_f32 v63, v15, v6, v63                                // 000000003408: D1CB003F 04FE0D0F
	v_mul_f32_dpp v6, v20, v45 row_newbcast:0 row_mask:0xf bank_mask:0xf// 000000003410: 0A0C5AFA FF015014
	v_mfma_f32_16x16x128_f8f6f4 v[12:15], a[96:103], a[24:31], 0// 000000003418: D3AD000C 1A023160
	buffer_load_dwordx4 a[116:119], v51, s[76:79], 0 offen offset:1024// 000000003420: E05C1400 80937433
	s_nop 5                                                    // 000000003428: BF800005
	v_fma_f32 v64, v8, v4, v64                                 // 00000000342C: D1CB0040 05020908
	v_fma_f32 v65, v9, v4, v65                                 // 000000003434: D1CB0041 05060909
	v_fma_f32 v66, v10, v4, v66                                // 00000000343C: D1CB0042 050A090A
	v_fma_f32 v67, v11, v4, v67                                // 000000003444: D1CB0043 050E090B
	v_mul_f32_dpp v4, v20, v46 row_newbcast:0 row_mask:0xf bank_mask:0xf// 00000000344C: 0A085CFA FF015014
	v_mfma_f32_16x16x128_f8f6f4 v[8:11], a[96:103], a[32:39], 0// 000000003454: D3AD0008 1A024160
	s_nop 5                                                    // 00000000345C: BF800005
	v_fma_f32 v68, v12, v6, v68                                // 000000003460: D1CB0044 05120D0C
	v_fma_f32 v69, v13, v6, v69                                // 000000003468: D1CB0045 05160D0D
	v_fma_f32 v70, v14, v6, v70                                // 000000003470: D1CB0046 051A0D0E
	v_fma_f32 v71, v15, v6, v71                                // 000000003478: D1CB0047 051E0D0F
	v_mul_f32_dpp v6, v20, v47 row_newbcast:0 row_mask:0xf bank_mask:0xf// 000000003480: 0A0C5EFA FF015014
	v_mfma_f32_16x16x128_f8f6f4 v[12:15], a[96:103], a[40:47], 0// 000000003488: D3AD000C 1A025160
	buffer_load_dwordx4 a[120:123], v52, s[76:79], 0 offen     // 000000003490: E05C1000 80937834
	s_nop 5                                                    // 000000003498: BF800005
	v_fma_f32 v72, v8, v4, v72                                 // 00000000349C: D1CB0048 05220908
	v_fma_f32 v73, v9, v4, v73                                 // 0000000034A4: D1CB0049 05260909
	v_fma_f32 v74, v10, v4, v74                                // 0000000034AC: D1CB004A 052A090A
	v_fma_f32 v75, v11, v4, v75                                // 0000000034B4: D1CB004B 052E090B
	s_waitcnt vmcnt(4)                                         // 0000000034BC: BF8C0F74
	v_mul_f32_dpp v4, v20, v42 row_newbcast:0 row_mask:0xf bank_mask:0xf// 0000000034C0: 0A0854FA FF015014
	v_mfma_f32_16x16x128_f8f6f4 v[8:11], a[104:111], a[0:7], 0 // 0000000034C8: D3AD0008 1A020168
	s_nop 5                                                    // 0000000034D0: BF800005
	v_fma_f32 v76, v12, v6, v76                                // 0000000034D4: D1CB004C 05320D0C
	v_fma_f32 v77, v13, v6, v77                                // 0000000034DC: D1CB004D 05360D0D
	v_fma_f32 v78, v14, v6, v78                                // 0000000034E4: D1CB004E 053A0D0E
	v_fma_f32 v79, v15, v6, v79                                // 0000000034EC: D1CB004F 053E0D0F
	v_mul_f32_dpp v6, v20, v43 row_newbcast:0 row_mask:0xf bank_mask:0xf// 0000000034F4: 0A0C56FA FF015014
	v_mfma_f32_16x16x128_f8f6f4 v[12:15], a[104:111], a[8:15], 0// 0000000034FC: D3AD000C 1A021168
	buffer_load_dwordx4 a[124:127], v52, s[76:79], 0 offen offset:1024// 000000003504: E05C1400 80937C34
	s_nop 5                                                    // 00000000350C: BF800005
	v_fma_f32 v80, v8, v4, v80                                 // 000000003510: D1CB0050 05420908
	v_fma_f32 v81, v9, v4, v81                                 // 000000003518: D1CB0051 05460909
	v_fma_f32 v82, v10, v4, v82                                // 000000003520: D1CB0052 054A090A
	v_fma_f32 v83, v11, v4, v83                                // 000000003528: D1CB0053 054E090B
	v_mul_f32_dpp v4, v20, v44 row_newbcast:0 row_mask:0xf bank_mask:0xf// 000000003530: 0A0858FA FF015014
	v_mfma_f32_16x16x128_f8f6f4 v[8:11], a[104:111], a[16:23], 0// 000000003538: D3AD0008 1A022168
	s_nop 5                                                    // 000000003540: BF800005
	v_fma_f32 v84, v12, v6, v84                                // 000000003544: D1CB0054 05520D0C
	v_fma_f32 v85, v13, v6, v85                                // 00000000354C: D1CB0055 05560D0D
	v_fma_f32 v86, v14, v6, v86                                // 000000003554: D1CB0056 055A0D0E
	v_fma_f32 v87, v15, v6, v87                                // 00000000355C: D1CB0057 055E0D0F
	v_mul_f32_dpp v6, v20, v45 row_newbcast:0 row_mask:0xf bank_mask:0xf// 000000003564: 0A0C5AFA FF015014
	v_mfma_f32_16x16x128_f8f6f4 v[12:15], a[104:111], a[24:31], 0// 00000000356C: D3AD000C 1A023168
	buffer_load_dwordx4 v48, s[20:23], 0 offen lds             // 000000003574: E05D1000 80050030
	s_add_u32 m0, 0x400, s46                                   // 00000000357C: 807C2EFF 00000400
	s_nop 5                                                    // 000000003584: BF800005
	v_fma_f32 v88, v8, v4, v88                                 // 000000003588: D1CB0058 05620908
	v_fma_f32 v89, v9, v4, v89                                 // 000000003590: D1CB0059 05660909
	v_fma_f32 v90, v10, v4, v90                                // 000000003598: D1CB005A 056A090A
	v_fma_f32 v91, v11, v4, v91                                // 0000000035A0: D1CB005B 056E090B
	v_mul_f32_dpp v4, v20, v46 row_newbcast:0 row_mask:0xf bank_mask:0xf// 0000000035A8: 0A085CFA FF015014
	v_mfma_f32_16x16x128_f8f6f4 v[8:11], a[104:111], a[32:39], 0// 0000000035B0: D3AD0008 1A024168
	s_add_u32 s52, 0x80, s70                                   // 0000000035B8: 803446FF 00000080
	s_cmp_lt_u32 s52, s71                                      // 0000000035C0: BF0A4734
	s_cselect_b32 s73, s73, 0                                  // 0000000035C4: 85498049
	s_cselect_b32 s4, s4, 0                                    // 0000000035C8: 85048004
	s_nop 5                                                    // 0000000035CC: BF800005
	v_fma_f32 v92, v12, v6, v92                                // 0000000035D0: D1CB005C 05720D0C
	v_fma_f32 v93, v13, v6, v93                                // 0000000035D8: D1CB005D 05760D0D
	v_fma_f32 v94, v14, v6, v94                                // 0000000035E0: D1CB005E 057A0D0E
	v_fma_f32 v95, v15, v6, v95                                // 0000000035E8: D1CB005F 057E0D0F
	v_mul_f32_dpp v6, v20, v47 row_newbcast:0 row_mask:0xf bank_mask:0xf// 0000000035F0: 0A0C5EFA FF015014
	v_mfma_f32_16x16x128_f8f6f4 v[12:15], a[104:111], a[40:47], 0// 0000000035F8: D3AD000C 1A025168
	buffer_load_dwordx4 v49, s[20:23], 0 offen lds             // 000000003600: E05D1000 80050031
	s_add_u32 m0, 0x800, s46                                   // 000000003608: 807C2EFF 00000800
	s_add_u32 s32, s4, s32                                     // 000000003610: 80202004
	s_addc_u32 s33, 0, s33                                     // 000000003614: 82212180
	s_nop 5                                                    // 000000003618: BF800005
	v_fma_f32 v96, v8, v4, v96                                 // 00000000361C: D1CB0060 05820908
	v_fma_f32 v97, v9, v4, v97                                 // 000000003624: D1CB0061 05860909
	v_fma_f32 v98, v10, v4, v98                                // 00000000362C: D1CB0062 058A090A
	v_fma_f32 v99, v11, v4, v99                                // 000000003634: D1CB0063 058E090B
	s_nop 5                                                    // 00000000363C: BF800005
	v_fma_f32 v100, v12, v6, v100                              // 000000003640: D1CB0064 05920D0C
	v_fma_f32 v101, v13, v6, v101                              // 000000003648: D1CB0065 05960D0D
	v_fma_f32 v102, v14, v6, v102                              // 000000003650: D1CB0066 059A0D0E
	v_fma_f32 v103, v15, v6, v103                              // 000000003658: D1CB0067 059E0D0F
	buffer_load_dwordx4 v50, s[20:23], 0 offen lds             // 000000003660: E05D1000 80050032
	s_add_u32 m0, 0, s47                                       // 000000003668: 807C2F80
	buffer_load_dword v30, v24, s[28:31], 0 offen              // 00000000366C: E0501000 80071E18
	buffer_load_dword v31, v25, s[28:31], 0 offen              // 000000003674: E0501000 80071F19
	buffer_load_dword v32, v26, s[28:31], 0 offen              // 00000000367C: E0501000 8007201A
	buffer_load_dword v33, v27, s[28:31], 0 offen              // 000000003684: E0501000 8007211B
	buffer_load_dword v34, v28, s[28:31], 0 offen              // 00000000368C: E0501000 8007221C
	buffer_load_dword v35, v29, s[28:31], 0 offen              // 000000003694: E0501000 8007231D
	s_waitcnt vmcnt(9)                                         // 00000000369C: BF8C0F79
	v_mul_f32_dpp v4, v23, v42 row_newbcast:0 row_mask:0xf bank_mask:0xf// 0000000036A0: 0A0854FA FF015017
	v_mfma_f32_16x16x128_f8f6f4 v[8:11], a[112:119], a[0:7], 0 // 0000000036A8: D3AD0008 1A020170
	buffer_load_dword v20, v18, s[32:35], 0 offen              // 0000000036B0: E0501000 80081412
	ds_read_b128 a[48:51], v2 offset:12416                     // 0000000036B8: DBFE3080 30000002
	ds_read_b128 a[52:55], v2 offset:12480                     // 0000000036C0: DBFE30C0 34000002
	v_mfma_f32_16x16x128_f8f6f4 v[12:15], a[120:127], a[0:7], 0// 0000000036C8: D3AD000C 1A020178
	buffer_load_dwordx4 a[96:99], v51, s[24:27], 0 offen       // 0000000036D0: E05C1000 80866033
	s_nop 5                                                    // 0000000036D8: BF800005
	v_fma_f32 v104, v8, v4, v104                               // 0000000036DC: D1CB0068 05A20908
	v_fma_f32 v105, v9, v4, v105                               // 0000000036E4: D1CB0069 05A60909
	v_fma_f32 v106, v10, v4, v106                              // 0000000036EC: D1CB006A 05AA090A
	v_fma_f32 v107, v11, v4, v107                              // 0000000036F4: D1CB006B 05AE090B
	v_mul_f32_dpp v6, v23, v43 row_newbcast:0 row_mask:0xf bank_mask:0xf// 0000000036FC: 0A0C56FA FF015017
	v_mfma_f32_16x16x128_f8f6f4 v[8:11], a[112:119], a[8:15], 0// 000000003704: D3AD0008 1A021170
	ds_read_b128 a[56:59], v2 offset:12928                     // 00000000370C: DBFE3280 38000002
	ds_read_b128 a[60:63], v2 offset:12992                     // 000000003714: DBFE32C0 3C000002
	s_nop 5                                                    // 00000000371C: BF800005
	v_fma_f32 v128, v12, v4, v128                              // 000000003720: D1CB0080 0602090C
	v_fma_f32 v129, v13, v4, v129                              // 000000003728: D1CB0081 0606090D
	v_fma_f32 v130, v14, v4, v130                              // 000000003730: D1CB0082 060A090E
	v_fma_f32 v131, v15, v4, v131                              // 000000003738: D1CB0083 060E090F
	v_mfma_f32_16x16x128_f8f6f4 v[12:15], a[120:127], a[8:15], 0// 000000003740: D3AD000C 1A021178
	buffer_load_dwordx4 a[100:103], v51, s[24:27], 0 offen offset:1024// 000000003748: E05C1400 80866433
	s_nop 5                                                    // 000000003750: BF800005
	v_fma_f32 v108, v8, v6, v108                               // 000000003754: D1CB006C 05B20D08
	v_fma_f32 v109, v9, v6, v109                               // 00000000375C: D1CB006D 05B60D09
	v_fma_f32 v110, v10, v6, v110                              // 000000003764: D1CB006E 05BA0D0A
	v_fma_f32 v111, v11, v6, v111                              // 00000000376C: D1CB006F 05BE0D0B
	v_mul_f32_dpp v4, v23, v44 row_newbcast:0 row_mask:0xf bank_mask:0xf// 000000003774: 0A0858FA FF015017
	v_mfma_f32_16x16x128_f8f6f4 v[8:11], a[112:119], a[16:23], 0// 00000000377C: D3AD0008 1A022170
	ds_read_b128 a[64:67], v2 offset:13440                     // 000000003784: DBFE3480 40000002
	ds_read_b128 a[68:71], v2 offset:13504                     // 00000000378C: DBFE34C0 44000002
	s_nop 5                                                    // 000000003794: BF800005
	v_fma_f32 v132, v12, v6, v132                              // 000000003798: D1CB0084 06120D0C
	v_fma_f32 v133, v13, v6, v133                              // 0000000037A0: D1CB0085 06160D0D
	v_fma_f32 v134, v14, v6, v134                              // 0000000037A8: D1CB0086 061A0D0E
	v_fma_f32 v135, v15, v6, v135                              // 0000000037B0: D1CB0087 061E0D0F
	v_mfma_f32_16x16x128_f8f6f4 v[12:15], a[120:127], a[16:23], 0// 0000000037B8: D3AD000C 1A022178
	buffer_load_dwordx4 a[104:107], v52, s[24:27], 0 offen     // 0000000037C0: E05C1000 80866834
	s_nop 5                                                    // 0000000037C8: BF800005
	v_fma_f32 v112, v8, v4, v112                               // 0000000037CC: D1CB0070 05C20908
	v_fma_f32 v113, v9, v4, v113                               // 0000000037D4: D1CB0071 05C60909
	v_fma_f32 v114, v10, v4, v114                              // 0000000037DC: D1CB0072 05CA090A
	v_fma_f32 v115, v11, v4, v115                              // 0000000037E4: D1CB0073 05CE090B
	v_mul_f32_dpp v6, v23, v45 row_newbcast:0 row_mask:0xf bank_mask:0xf// 0000000037EC: 0A0C5AFA FF015017
	v_mfma_f32_16x16x128_f8f6f4 v[8:11], a[112:119], a[24:31], 0// 0000000037F4: D3AD0008 1A023170
	ds_read_b128 a[72:75], v2 offset:13952                     // 0000000037FC: DBFE3680 48000002
	ds_read_b128 a[76:79], v2 offset:14016                     // 000000003804: DBFE36C0 4C000002
	s_nop 5                                                    // 00000000380C: BF800005
	v_fma_f32 v136, v12, v4, v136                              // 000000003810: D1CB0088 0622090C
	v_fma_f32 v137, v13, v4, v137                              // 000000003818: D1CB0089 0626090D
	v_fma_f32 v138, v14, v4, v138                              // 000000003820: D1CB008A 062A090E
	v_fma_f32 v139, v15, v4, v139                              // 000000003828: D1CB008B 062E090F
	v_mfma_f32_16x16x128_f8f6f4 v[12:15], a[120:127], a[24:31], 0// 000000003830: D3AD000C 1A023178
	buffer_load_dwordx4 a[108:111], v52, s[24:27], 0 offen offset:1024// 000000003838: E05C1400 80866C34
	s_add_u32 s52, 0x100, s70                                  // 000000003840: 803446FF 00000100
	s_cmp_lt_u32 s52, s71                                      // 000000003848: BF0A4734
	s_cselect_b32 s58, s58, 0                                  // 00000000384C: 853A803A
	s_nop 5                                                    // 000000003850: BF800005
	v_fma_f32 v116, v8, v6, v116                               // 000000003854: D1CB0074 05D20D08
	v_fma_f32 v117, v9, v6, v117                               // 00000000385C: D1CB0075 05D60D09
	v_fma_f32 v118, v10, v6, v118                              // 000000003864: D1CB0076 05DA0D0A
	v_fma_f32 v119, v11, v6, v119                              // 00000000386C: D1CB0077 05DE0D0B
	v_mul_f32_dpp v4, v23, v46 row_newbcast:0 row_mask:0xf bank_mask:0xf// 000000003874: 0A085CFA FF015017
	v_mfma_f32_16x16x128_f8f6f4 v[8:11], a[112:119], a[32:39], 0// 00000000387C: D3AD0008 1A024170
	ds_read_b128 a[80:83], v2 offset:14464                     // 000000003884: DBFE3880 50000002
	ds_read_b128 a[84:87], v2 offset:14528                     // 00000000388C: DBFE38C0 54000002
	s_add_u32 s76, s73, s24                                    // 000000003894: 804C1849
	s_addc_u32 s77, 0, s77                                     // 000000003898: 824D4D80
	s_nop 5                                                    // 00000000389C: BF800005
	v_fma_f32 v140, v12, v6, v140                              // 0000000038A0: D1CB008C 06320D0C
	v_fma_f32 v141, v13, v6, v141                              // 0000000038A8: D1CB008D 06360D0D
	v_fma_f32 v142, v14, v6, v142                              // 0000000038B0: D1CB008E 063A0D0E
	v_fma_f32 v143, v15, v6, v143                              // 0000000038B8: D1CB008F 063E0D0F
	v_mfma_f32_16x16x128_f8f6f4 v[12:15], a[120:127], a[32:39], 0// 0000000038C0: D3AD000C 1A024178
	s_add_u32 s52, 0x180, s70                                  // 0000000038C8: 803446FF 00000180
	s_cmp_lt_u32 s52, s71                                      // 0000000038D0: BF0A4734
	s_cselect_b32 s57, s57, 0                                  // 0000000038D4: 85398039
	s_cselect_b32 s6, s6, 0                                    // 0000000038D8: 85068006
	s_nop 5                                                    // 0000000038DC: BF800005
	v_fma_f32 v120, v8, v4, v120                               // 0000000038E0: D1CB0078 05E20908
	v_fma_f32 v121, v9, v4, v121                               // 0000000038E8: D1CB0079 05E60909
	v_fma_f32 v122, v10, v4, v122                              // 0000000038F0: D1CB007A 05EA090A
	v_fma_f32 v123, v11, v4, v123                              // 0000000038F8: D1CB007B 05EE090B
	v_mul_f32_dpp v6, v23, v47 row_newbcast:0 row_mask:0xf bank_mask:0xf// 000000003900: 0A0C5EFA FF015017
	v_mfma_f32_16x16x128_f8f6f4 v[8:11], a[112:119], a[40:47], 0// 000000003908: D3AD0008 1A025170
	ds_read_b128 a[88:91], v2 offset:14976                     // 000000003910: DBFE3A80 58000002
	ds_read_b128 a[92:95], v2 offset:15040                     // 000000003918: DBFE3AC0 5C000002
	s_add_u32 s20, s57, s20                                    // 000000003920: 80141439
	s_addc_u32 s21, 0, s21                                     // 000000003924: 82151580
	s_add_u32 s28, s6, s28                                     // 000000003928: 801C1C06
	s_addc_u32 s29, 0, s29                                     // 00000000392C: 821D1D80
	s_nop 5                                                    // 000000003930: BF800005
	v_fma_f32 v144, v12, v4, v144                              // 000000003934: D1CB0090 0642090C
	v_fma_f32 v145, v13, v4, v145                              // 00000000393C: D1CB0091 0646090D
	v_fma_f32 v146, v14, v4, v146                              // 000000003944: D1CB0092 064A090E
	v_fma_f32 v147, v15, v4, v147                              // 00000000394C: D1CB0093 064E090F
	v_mfma_f32_16x16x128_f8f6f4 v[12:15], a[120:127], a[40:47], 0// 000000003954: D3AD000C 1A025178
	s_add_u32 s24, s58, s24                                    // 00000000395C: 8018183A
	s_addc_u32 s25, 0, s25                                     // 000000003960: 82191980
	s_nop 5                                                    // 000000003964: BF800005
	v_fma_f32 v124, v8, v6, v124                               // 000000003968: D1CB007C 05F20D08
	v_fma_f32 v125, v9, v6, v125                               // 000000003970: D1CB007D 05F60D09
	v_fma_f32 v126, v10, v6, v126                              // 000000003978: D1CB007E 05FA0D0A
	v_fma_f32 v127, v11, v6, v127                              // 000000003980: D1CB007F 05FE0D0B
	s_nop 5                                                    // 000000003988: BF800005
	v_fma_f32 v148, v12, v6, v148                              // 00000000398C: D1CB0094 06520D0C
	v_fma_f32 v149, v13, v6, v149                              // 000000003994: D1CB0095 06560D0D
	v_fma_f32 v150, v14, v6, v150                              // 00000000399C: D1CB0096 065A0D0E
	v_fma_f32 v151, v15, v6, v151                              // 0000000039A4: D1CB0097 065E0D0F
	s_addk_i32 s70, 0x80                                       // 0000000039AC: B7460080
	s_cmp_lt_i32 s70, s71                                      // 0000000039B0: BF044746
	s_cbranch_scc0 label_05C3                                  // 0000000039B4: BF840195
	s_waitcnt vmcnt(2) lgkmcnt(0)                              // 0000000039B8: BF8C0072
	s_barrier                                                  // 0000000039BC: BF8A0000
	v_mov_b32_e32 v42, v36                                     // 0000000039C0: 7E540324
	v_mov_b32_e32 v43, v37                                     // 0000000039C4: 7E560325
	v_mov_b32_e32 v44, v38                                     // 0000000039C8: 7E580326
	v_mov_b32_e32 v45, v39                                     // 0000000039CC: 7E5A0327
	v_mov_b32_e32 v46, v40                                     // 0000000039D0: 7E5C0328
	v_mov_b32_e32 v47, v41                                     // 0000000039D4: 7E5E0329
	v_mul_f32_dpp v4, v20, v42 row_newbcast:0 row_mask:0xf bank_mask:0xf// 0000000039D8: 0A0854FA FF015014
	v_mfma_f32_16x16x128_f8f6f4 v[8:11], a[96:103], a[48:55], 0// 0000000039E0: D3AD0008 1A026160
	buffer_load_dword v23, v19, s[32:35], 0 offen              // 0000000039E8: E0501000 80081713
	v_mul_f32_dpp v6, v20, v43 row_newbcast:0 row_mask:0xf bank_mask:0xf// 0000000039F0: 0A0C56FA FF015014
	v_mfma_f32_16x16x128_f8f6f4 v[12:15], a[96:103], a[56:63], 0// 0000000039F8: D3AD000C 1A027160
	buffer_load_dwordx4 a[112:115], v51, s[76:79], 0 offen     // 000000003A00: E05C1000 80937033
	s_nop 5                                                    // 000000003A08: BF800005
	v_fma_f32 v56, v8, v4, v56                                 // 000000003A0C: D1CB0038 04E20908
	v_fma_f32 v57, v9, v4, v57                                 // 000000003A14: D1CB0039 04E60909
	v_fma_f32 v58, v10, v4, v58                                // 000000003A1C: D1CB003A 04EA090A
	v_fma_f32 v59, v11, v4, v59                                // 000000003A24: D1CB003B 04EE090B
	v_mul_f32_dpp v4, v20, v44 row_newbcast:0 row_mask:0xf bank_mask:0xf// 000000003A2C: 0A0858FA FF015014
	v_mfma_f32_16x16x128_f8f6f4 v[8:11], a[96:103], a[64:71], 0// 000000003A34: D3AD0008 1A028160
	s_nop 5                                                    // 000000003A3C: BF800005
	v_fma_f32 v60, v12, v6, v60                                // 000000003A40: D1CB003C 04F20D0C
	v_fma_f32 v61, v13, v6, v61                                // 000000003A48: D1CB003D 04F60D0D
	v_fma_f32 v62, v14, v6, v62                                // 000000003A50: D1CB003E 04FA0D0E
	v_fma_f32 v63, v15, v6, v63                                // 000000003A58: D1CB003F 04FE0D0F
	v_mul_f32_dpp v6, v20, v45 row_newbcast:0 row_mask:0xf bank_mask:0xf// 000000003A60: 0A0C5AFA FF015014
	v_mfma_f32_16x16x128_f8f6f4 v[12:15], a[96:103], a[72:79], 0// 000000003A68: D3AD000C 1A029160
	buffer_load_dwordx4 a[116:119], v51, s[76:79], 0 offen offset:1024// 000000003A70: E05C1400 80937433
	s_nop 5                                                    // 000000003A78: BF800005
	v_fma_f32 v64, v8, v4, v64                                 // 000000003A7C: D1CB0040 05020908
	v_fma_f32 v65, v9, v4, v65                                 // 000000003A84: D1CB0041 05060909
	v_fma_f32 v66, v10, v4, v66                                // 000000003A8C: D1CB0042 050A090A
	v_fma_f32 v67, v11, v4, v67                                // 000000003A94: D1CB0043 050E090B
	v_mul_f32_dpp v4, v20, v46 row_newbcast:0 row_mask:0xf bank_mask:0xf// 000000003A9C: 0A085CFA FF015014
	v_mfma_f32_16x16x128_f8f6f4 v[8:11], a[96:103], a[80:87], 0// 000000003AA4: D3AD0008 1A02A160
	s_nop 5                                                    // 000000003AAC: BF800005
	v_fma_f32 v68, v12, v6, v68                                // 000000003AB0: D1CB0044 05120D0C
	v_fma_f32 v69, v13, v6, v69                                // 000000003AB8: D1CB0045 05160D0D
	v_fma_f32 v70, v14, v6, v70                                // 000000003AC0: D1CB0046 051A0D0E
	v_fma_f32 v71, v15, v6, v71                                // 000000003AC8: D1CB0047 051E0D0F
	v_mul_f32_dpp v6, v20, v47 row_newbcast:0 row_mask:0xf bank_mask:0xf// 000000003AD0: 0A0C5EFA FF015014
	v_mfma_f32_16x16x128_f8f6f4 v[12:15], a[96:103], a[88:95], 0// 000000003AD8: D3AD000C 1A02B160
	buffer_load_dwordx4 a[120:123], v52, s[76:79], 0 offen     // 000000003AE0: E05C1000 80937834
	s_nop 5                                                    // 000000003AE8: BF800005
	v_fma_f32 v72, v8, v4, v72                                 // 000000003AEC: D1CB0048 05220908
	v_fma_f32 v73, v9, v4, v73                                 // 000000003AF4: D1CB0049 05260909
	v_fma_f32 v74, v10, v4, v74                                // 000000003AFC: D1CB004A 052A090A
	v_fma_f32 v75, v11, v4, v75                                // 000000003B04: D1CB004B 052E090B
	s_waitcnt vmcnt(4)                                         // 000000003B0C: BF8C0F74
	v_mul_f32_dpp v4, v20, v42 row_newbcast:0 row_mask:0xf bank_mask:0xf// 000000003B10: 0A0854FA FF015014
	v_mfma_f32_16x16x128_f8f6f4 v[8:11], a[104:111], a[48:55], 0// 000000003B18: D3AD0008 1A026168
	s_nop 5                                                    // 000000003B20: BF800005
	v_fma_f32 v76, v12, v6, v76                                // 000000003B24: D1CB004C 05320D0C
	v_fma_f32 v77, v13, v6, v77                                // 000000003B2C: D1CB004D 05360D0D
	v_fma_f32 v78, v14, v6, v78                                // 000000003B34: D1CB004E 053A0D0E
	v_fma_f32 v79, v15, v6, v79                                // 000000003B3C: D1CB004F 053E0D0F
	v_mul_f32_dpp v6, v20, v43 row_newbcast:0 row_mask:0xf bank_mask:0xf// 000000003B44: 0A0C56FA FF015014
	v_mfma_f32_16x16x128_f8f6f4 v[12:15], a[104:111], a[56:63], 0// 000000003B4C: D3AD000C 1A027168
	buffer_load_dwordx4 a[124:127], v52, s[76:79], 0 offen offset:1024// 000000003B54: E05C1400 80937C34
	s_nop 5                                                    // 000000003B5C: BF800005
	v_fma_f32 v80, v8, v4, v80                                 // 000000003B60: D1CB0050 05420908
	v_fma_f32 v81, v9, v4, v81                                 // 000000003B68: D1CB0051 05460909
	v_fma_f32 v82, v10, v4, v82                                // 000000003B70: D1CB0052 054A090A
	v_fma_f32 v83, v11, v4, v83                                // 000000003B78: D1CB0053 054E090B
	v_mul_f32_dpp v4, v20, v44 row_newbcast:0 row_mask:0xf bank_mask:0xf// 000000003B80: 0A0858FA FF015014
	v_mfma_f32_16x16x128_f8f6f4 v[8:11], a[104:111], a[64:71], 0// 000000003B88: D3AD0008 1A028168
	s_nop 5                                                    // 000000003B90: BF800005
	v_fma_f32 v84, v12, v6, v84                                // 000000003B94: D1CB0054 05520D0C
	v_fma_f32 v85, v13, v6, v85                                // 000000003B9C: D1CB0055 05560D0D
	v_fma_f32 v86, v14, v6, v86                                // 000000003BA4: D1CB0056 055A0D0E
	v_fma_f32 v87, v15, v6, v87                                // 000000003BAC: D1CB0057 055E0D0F
	v_mul_f32_dpp v6, v20, v45 row_newbcast:0 row_mask:0xf bank_mask:0xf// 000000003BB4: 0A0C5AFA FF015014
	v_mfma_f32_16x16x128_f8f6f4 v[12:15], a[104:111], a[72:79], 0// 000000003BBC: D3AD000C 1A029168
	buffer_load_dwordx4 v48, s[20:23], 0 offen lds             // 000000003BC4: E05D1000 80050030
	s_add_u32 m0, 0x400, s47                                   // 000000003BCC: 807C2FFF 00000400
	s_nop 5                                                    // 000000003BD4: BF800005
	v_fma_f32 v88, v8, v4, v88                                 // 000000003BD8: D1CB0058 05620908
	v_fma_f32 v89, v9, v4, v89                                 // 000000003BE0: D1CB0059 05660909
	v_fma_f32 v90, v10, v4, v90                                // 000000003BE8: D1CB005A 056A090A
	v_fma_f32 v91, v11, v4, v91                                // 000000003BF0: D1CB005B 056E090B
	v_mul_f32_dpp v4, v20, v46 row_newbcast:0 row_mask:0xf bank_mask:0xf// 000000003BF8: 0A085CFA FF015014
	v_mfma_f32_16x16x128_f8f6f4 v[8:11], a[104:111], a[80:87], 0// 000000003C00: D3AD0008 1A02A168
	s_add_u32 s52, 0x80, s70                                   // 000000003C08: 803446FF 00000080
	s_cmp_lt_u32 s52, s71                                      // 000000003C10: BF0A4734
	s_cselect_b32 s73, s73, 0                                  // 000000003C14: 85498049
	s_cselect_b32 s4, s4, 0                                    // 000000003C18: 85048004
	s_nop 5                                                    // 000000003C1C: BF800005
	v_fma_f32 v92, v12, v6, v92                                // 000000003C20: D1CB005C 05720D0C
	v_fma_f32 v93, v13, v6, v93                                // 000000003C28: D1CB005D 05760D0D
	v_fma_f32 v94, v14, v6, v94                                // 000000003C30: D1CB005E 057A0D0E
	v_fma_f32 v95, v15, v6, v95                                // 000000003C38: D1CB005F 057E0D0F
	v_mul_f32_dpp v6, v20, v47 row_newbcast:0 row_mask:0xf bank_mask:0xf// 000000003C40: 0A0C5EFA FF015014
	v_mfma_f32_16x16x128_f8f6f4 v[12:15], a[104:111], a[88:95], 0// 000000003C48: D3AD000C 1A02B168
	buffer_load_dwordx4 v49, s[20:23], 0 offen lds             // 000000003C50: E05D1000 80050031
	s_add_u32 m0, 0x800, s47                                   // 000000003C58: 807C2FFF 00000800
	s_add_u32 s32, s4, s32                                     // 000000003C60: 80202004
	s_addc_u32 s33, 0, s33                                     // 000000003C64: 82212180
	s_nop 5                                                    // 000000003C68: BF800005
	v_fma_f32 v96, v8, v4, v96                                 // 000000003C6C: D1CB0060 05820908
	v_fma_f32 v97, v9, v4, v97                                 // 000000003C74: D1CB0061 05860909
	v_fma_f32 v98, v10, v4, v98                                // 000000003C7C: D1CB0062 058A090A
	v_fma_f32 v99, v11, v4, v99                                // 000000003C84: D1CB0063 058E090B
	s_nop 5                                                    // 000000003C8C: BF800005
	v_fma_f32 v100, v12, v6, v100                              // 000000003C90: D1CB0064 05920D0C
	v_fma_f32 v101, v13, v6, v101                              // 000000003C98: D1CB0065 05960D0D
	v_fma_f32 v102, v14, v6, v102                              // 000000003CA0: D1CB0066 059A0D0E
	v_fma_f32 v103, v15, v6, v103                              // 000000003CA8: D1CB0067 059E0D0F
	buffer_load_dwordx4 v50, s[20:23], 0 offen lds             // 000000003CB0: E05D1000 80050032
	s_add_u32 m0, 0, s46                                       // 000000003CB8: 807C2E80
	buffer_load_dword v36, v24, s[28:31], 0 offen              // 000000003CBC: E0501000 80072418
	buffer_load_dword v37, v25, s[28:31], 0 offen              // 000000003CC4: E0501000 80072519
	buffer_load_dword v38, v26, s[28:31], 0 offen              // 000000003CCC: E0501000 8007261A
	buffer_load_dword v39, v27, s[28:31], 0 offen              // 000000003CD4: E0501000 8007271B
	buffer_load_dword v40, v28, s[28:31], 0 offen              // 000000003CDC: E0501000 8007281C
	buffer_load_dword v41, v29, s[28:31], 0 offen              // 000000003CE4: E0501000 8007291D
	s_waitcnt vmcnt(9)                                         // 000000003CEC: BF8C0F79
	v_mul_f32_dpp v4, v23, v42 row_newbcast:0 row_mask:0xf bank_mask:0xf// 000000003CF0: 0A0854FA FF015017
	v_mfma_f32_16x16x128_f8f6f4 v[8:11], a[112:119], a[48:55], 0// 000000003CF8: D3AD0008 1A026170
	buffer_load_dword v20, v18, s[32:35], 0 offen              // 000000003D00: E0501000 80081412
	ds_read_b128 a[0:3], v2                                    // 000000003D08: DBFE0000 00000002
	ds_read_b128 a[4:7], v2 offset:64                          // 000000003D10: DBFE0040 04000002
	v_mfma_f32_16x16x128_f8f6f4 v[12:15], a[120:127], a[48:55], 0// 000000003D18: D3AD000C 1A026178
	buffer_load_dwordx4 a[96:99], v51, s[24:27], 0 offen       // 000000003D20: E05C1000 80866033
	s_nop 5                                                    // 000000003D28: BF800005
	v_fma_f32 v104, v8, v4, v104                               // 000000003D2C: D1CB0068 05A20908
	v_fma_f32 v105, v9, v4, v105                               // 000000003D34: D1CB0069 05A60909
	v_fma_f32 v106, v10, v4, v106                              // 000000003D3C: D1CB006A 05AA090A
	v_fma_f32 v107, v11, v4, v107                              // 000000003D44: D1CB006B 05AE090B
	v_mul_f32_dpp v6, v23, v43 row_newbcast:0 row_mask:0xf bank_mask:0xf// 000000003D4C: 0A0C56FA FF015017
	v_mfma_f32_16x16x128_f8f6f4 v[8:11], a[112:119], a[56:63], 0// 000000003D54: D3AD0008 1A027170
	ds_read_b128 a[8:11], v2 offset:512                        // 000000003D5C: DBFE0200 08000002
	ds_read_b128 a[12:15], v2 offset:576                       // 000000003D64: DBFE0240 0C000002
	s_nop 5                                                    // 000000003D6C: BF800005
	v_fma_f32 v128, v12, v4, v128                              // 000000003D70: D1CB0080 0602090C
	v_fma_f32 v129, v13, v4, v129                              // 000000003D78: D1CB0081 0606090D
	v_fma_f32 v130, v14, v4, v130                              // 000000003D80: D1CB0082 060A090E
	v_fma_f32 v131, v15, v4, v131                              // 000000003D88: D1CB0083 060E090F
	v_mfma_f32_16x16x128_f8f6f4 v[12:15], a[120:127], a[56:63], 0// 000000003D90: D3AD000C 1A027178
	buffer_load_dwordx4 a[100:103], v51, s[24:27], 0 offen offset:1024// 000000003D98: E05C1400 80866433
	s_nop 5                                                    // 000000003DA0: BF800005
	v_fma_f32 v108, v8, v6, v108                               // 000000003DA4: D1CB006C 05B20D08
	v_fma_f32 v109, v9, v6, v109                               // 000000003DAC: D1CB006D 05B60D09
	v_fma_f32 v110, v10, v6, v110                              // 000000003DB4: D1CB006E 05BA0D0A
	v_fma_f32 v111, v11, v6, v111                              // 000000003DBC: D1CB006F 05BE0D0B
	v_mul_f32_dpp v4, v23, v44 row_newbcast:0 row_mask:0xf bank_mask:0xf// 000000003DC4: 0A0858FA FF015017
	v_mfma_f32_16x16x128_f8f6f4 v[8:11], a[112:119], a[64:71], 0// 000000003DCC: D3AD0008 1A028170
	ds_read_b128 a[16:19], v2 offset:1024                      // 000000003DD4: DBFE0400 10000002
	ds_read_b128 a[20:23], v2 offset:1088                      // 000000003DDC: DBFE0440 14000002
	s_nop 5                                                    // 000000003DE4: BF800005
	v_fma_f32 v132, v12, v6, v132                              // 000000003DE8: D1CB0084 06120D0C
	v_fma_f32 v133, v13, v6, v133                              // 000000003DF0: D1CB0085 06160D0D
	v_fma_f32 v134, v14, v6, v134                              // 000000003DF8: D1CB0086 061A0D0E
	v_fma_f32 v135, v15, v6, v135                              // 000000003E00: D1CB0087 061E0D0F
	v_mfma_f32_16x16x128_f8f6f4 v[12:15], a[120:127], a[64:71], 0// 000000003E08: D3AD000C 1A028178
	buffer_load_dwordx4 a[104:107], v52, s[24:27], 0 offen     // 000000003E10: E05C1000 80866834
	s_nop 5                                                    // 000000003E18: BF800005
	v_fma_f32 v112, v8, v4, v112                               // 000000003E1C: D1CB0070 05C20908
	v_fma_f32 v113, v9, v4, v113                               // 000000003E24: D1CB0071 05C60909
	v_fma_f32 v114, v10, v4, v114                              // 000000003E2C: D1CB0072 05CA090A
	v_fma_f32 v115, v11, v4, v115                              // 000000003E34: D1CB0073 05CE090B
	v_mul_f32_dpp v6, v23, v45 row_newbcast:0 row_mask:0xf bank_mask:0xf// 000000003E3C: 0A0C5AFA FF015017
	v_mfma_f32_16x16x128_f8f6f4 v[8:11], a[112:119], a[72:79], 0// 000000003E44: D3AD0008 1A029170
	ds_read_b128 a[24:27], v2 offset:1536                      // 000000003E4C: DBFE0600 18000002
	ds_read_b128 a[28:31], v2 offset:1600                      // 000000003E54: DBFE0640 1C000002
	s_nop 5                                                    // 000000003E5C: BF800005
	v_fma_f32 v136, v12, v4, v136                              // 000000003E60: D1CB0088 0622090C
	v_fma_f32 v137, v13, v4, v137                              // 000000003E68: D1CB0089 0626090D
	v_fma_f32 v138, v14, v4, v138                              // 000000003E70: D1CB008A 062A090E
	v_fma_f32 v139, v15, v4, v139                              // 000000003E78: D1CB008B 062E090F
	v_mfma_f32_16x16x128_f8f6f4 v[12:15], a[120:127], a[72:79], 0// 000000003E80: D3AD000C 1A029178
	buffer_load_dwordx4 a[108:111], v52, s[24:27], 0 offen offset:1024// 000000003E88: E05C1400 80866C34
	s_add_u32 s52, 0x100, s70                                  // 000000003E90: 803446FF 00000100
	s_cmp_lt_u32 s52, s71                                      // 000000003E98: BF0A4734
	s_cselect_b32 s58, s58, 0                                  // 000000003E9C: 853A803A
	s_nop 5                                                    // 000000003EA0: BF800005
	v_fma_f32 v116, v8, v6, v116                               // 000000003EA4: D1CB0074 05D20D08
	v_fma_f32 v117, v9, v6, v117                               // 000000003EAC: D1CB0075 05D60D09
	v_fma_f32 v118, v10, v6, v118                              // 000000003EB4: D1CB0076 05DA0D0A
	v_fma_f32 v119, v11, v6, v119                              // 000000003EBC: D1CB0077 05DE0D0B
	v_mul_f32_dpp v4, v23, v46 row_newbcast:0 row_mask:0xf bank_mask:0xf// 000000003EC4: 0A085CFA FF015017
	v_mfma_f32_16x16x128_f8f6f4 v[8:11], a[112:119], a[80:87], 0// 000000003ECC: D3AD0008 1A02A170
	ds_read_b128 a[32:35], v2 offset:2048                      // 000000003ED4: DBFE0800 20000002
	ds_read_b128 a[36:39], v2 offset:2112                      // 000000003EDC: DBFE0840 24000002
	s_add_u32 s76, s73, s24                                    // 000000003EE4: 804C1849
	s_addc_u32 s77, 0, s77                                     // 000000003EE8: 824D4D80
	s_nop 5                                                    // 000000003EEC: BF800005
	v_fma_f32 v140, v12, v6, v140                              // 000000003EF0: D1CB008C 06320D0C
	v_fma_f32 v141, v13, v6, v141                              // 000000003EF8: D1CB008D 06360D0D
	v_fma_f32 v142, v14, v6, v142                              // 000000003F00: D1CB008E 063A0D0E
	v_fma_f32 v143, v15, v6, v143                              // 000000003F08: D1CB008F 063E0D0F
	v_mfma_f32_16x16x128_f8f6f4 v[12:15], a[120:127], a[80:87], 0// 000000003F10: D3AD000C 1A02A178
	s_add_u32 s52, 0x180, s70                                  // 000000003F18: 803446FF 00000180
	s_cmp_lt_u32 s52, s71                                      // 000000003F20: BF0A4734
	s_cselect_b32 s57, s57, 0                                  // 000000003F24: 85398039
	s_cselect_b32 s6, s6, 0                                    // 000000003F28: 85068006
	s_nop 5                                                    // 000000003F2C: BF800005
	v_fma_f32 v120, v8, v4, v120                               // 000000003F30: D1CB0078 05E20908
	v_fma_f32 v121, v9, v4, v121                               // 000000003F38: D1CB0079 05E60909
	v_fma_f32 v122, v10, v4, v122                              // 000000003F40: D1CB007A 05EA090A
	v_fma_f32 v123, v11, v4, v123                              // 000000003F48: D1CB007B 05EE090B
	v_mul_f32_dpp v6, v23, v47 row_newbcast:0 row_mask:0xf bank_mask:0xf// 000000003F50: 0A0C5EFA FF015017
	v_mfma_f32_16x16x128_f8f6f4 v[8:11], a[112:119], a[88:95], 0// 000000003F58: D3AD0008 1A02B170
	ds_read_b128 a[40:43], v2 offset:2560                      // 000000003F60: DBFE0A00 28000002
	ds_read_b128 a[44:47], v2 offset:2624                      // 000000003F68: DBFE0A40 2C000002
	s_add_u32 s20, s57, s20                                    // 000000003F70: 80141439
	s_addc_u32 s21, 0, s21                                     // 000000003F74: 82151580
	s_add_u32 s28, s6, s28                                     // 000000003F78: 801C1C06
	s_addc_u32 s29, 0, s29                                     // 000000003F7C: 821D1D80
	s_nop 5                                                    // 000000003F80: BF800005
	v_fma_f32 v144, v12, v4, v144                              // 000000003F84: D1CB0090 0642090C
	v_fma_f32 v145, v13, v4, v145                              // 000000003F8C: D1CB0091 0646090D
	v_fma_f32 v146, v14, v4, v146                              // 000000003F94: D1CB0092 064A090E
	v_fma_f32 v147, v15, v4, v147                              // 000000003F9C: D1CB0093 064E090F
	v_mfma_f32_16x16x128_f8f6f4 v[12:15], a[120:127], a[88:95], 0// 000000003FA4: D3AD000C 1A02B178
	s_add_u32 s24, s58, s24                                    // 000000003FAC: 8018183A
	s_addc_u32 s25, 0, s25                                     // 000000003FB0: 82191980
	s_nop 5                                                    // 000000003FB4: BF800005
	v_fma_f32 v124, v8, v6, v124                               // 000000003FB8: D1CB007C 05F20D08
	v_fma_f32 v125, v9, v6, v125                               // 000000003FC0: D1CB007D 05F60D09
	v_fma_f32 v126, v10, v6, v126                              // 000000003FC8: D1CB007E 05FA0D0A
	v_fma_f32 v127, v11, v6, v127                              // 000000003FD0: D1CB007F 05FE0D0B
	s_nop 5                                                    // 000000003FD8: BF800005
	v_fma_f32 v148, v12, v6, v148                              // 000000003FDC: D1CB0094 06520D0C
	v_fma_f32 v149, v13, v6, v149                              // 000000003FE4: D1CB0095 06560D0D
	v_fma_f32 v150, v14, v6, v150                              // 000000003FEC: D1CB0096 065A0D0E
	v_fma_f32 v151, v15, v6, v151                              // 000000003FF4: D1CB0097 065E0D0F
	s_addk_i32 s70, 0x80                                       // 000000003FFC: B7460080
	s_cmp_lt_i32 s70, s71                                      // 000000004000: BF044746
	s_cbranch_scc0 label_05C3                                  // 000000004004: BF840001
	s_branch label_029A                                        // 000000004008: BF82FCD7

000000000000400c <label_05C3>:
	s_cmp_eq_u32 s74, 0                                        // 00000000400C: BF06804A
	s_cbranch_scc0 label_08ED                                  // 000000004010: BF840328
	v_cvt_pk_bf16_f32 v56, v56, v57                            // 000000004014: D2680038 00027338
	v_cvt_pk_bf16_f32 v57, v58, v59                            // 00000000401C: D2680039 0002773A
	v_cvt_pk_bf16_f32 v58, v60, v61                            // 000000004024: D268003A 00027B3C
	v_cvt_pk_bf16_f32 v59, v62, v63                            // 00000000402C: D268003B 00027F3E
	v_cvt_pk_bf16_f32 v60, v64, v65                            // 000000004034: D268003C 00028340
	v_cvt_pk_bf16_f32 v61, v66, v67                            // 00000000403C: D268003D 00028742
	v_cvt_pk_bf16_f32 v62, v68, v69                            // 000000004044: D268003E 00028B44
	v_cvt_pk_bf16_f32 v63, v70, v71                            // 00000000404C: D268003F 00028F46
	v_cvt_pk_bf16_f32 v64, v72, v73                            // 000000004054: D2680040 00029348
	v_cvt_pk_bf16_f32 v65, v74, v75                            // 00000000405C: D2680041 0002974A
	v_cvt_pk_bf16_f32 v66, v76, v77                            // 000000004064: D2680042 00029B4C
	v_cvt_pk_bf16_f32 v67, v78, v79                            // 00000000406C: D2680043 00029F4E
	v_cvt_pk_bf16_f32 v68, v80, v81                            // 000000004074: D2680044 0002A350
	v_cvt_pk_bf16_f32 v69, v82, v83                            // 00000000407C: D2680045 0002A752
	v_cvt_pk_bf16_f32 v70, v84, v85                            // 000000004084: D2680046 0002AB54
	v_cvt_pk_bf16_f32 v71, v86, v87                            // 00000000408C: D2680047 0002AF56
	v_cvt_pk_bf16_f32 v72, v88, v89                            // 000000004094: D2680048 0002B358
	v_cvt_pk_bf16_f32 v73, v90, v91                            // 00000000409C: D2680049 0002B75A
	v_cvt_pk_bf16_f32 v74, v92, v93                            // 0000000040A4: D268004A 0002BB5C
	v_cvt_pk_bf16_f32 v75, v94, v95                            // 0000000040AC: D268004B 0002BF5E
	v_cvt_pk_bf16_f32 v76, v96, v97                            // 0000000040B4: D268004C 0002C360
	v_cvt_pk_bf16_f32 v77, v98, v99                            // 0000000040BC: D268004D 0002C762
	v_cvt_pk_bf16_f32 v78, v100, v101                          // 0000000040C4: D268004E 0002CB64
	v_cvt_pk_bf16_f32 v79, v102, v103                          // 0000000040CC: D268004F 0002CF66
	ds_write_b64 v16, v[56:57]                                 // 0000000040D4: D89A0000 00003810
	ds_write_b64 v16, v[58:59] offset:4352                     // 0000000040DC: D89A1100 00003A10
	ds_write_b64 v16, v[60:61] offset:8704                     // 0000000040E4: D89A2200 00003C10
	ds_write_b64 v16, v[62:63] offset:13056                    // 0000000040EC: D89A3300 00003E10
	ds_write_b64 v16, v[64:65] offset:17408                    // 0000000040F4: D89A4400 00004010
	ds_write_b64 v16, v[66:67] offset:21760                    // 0000000040FC: D89A5500 00004210
	ds_write_b64 v16, v[68:69] offset:2176                     // 000000004104: D89A0880 00004410
	ds_write_b64 v16, v[70:71] offset:6528                     // 00000000410C: D89A1980 00004610
	ds_write_b64 v16, v[72:73] offset:10880                    // 000000004114: D89A2A80 00004810
	ds_write_b64 v16, v[74:75] offset:15232                    // 00000000411C: D89A3B80 00004A10
	ds_write_b64 v16, v[76:77] offset:19584                    // 000000004124: D89A4C80 00004C10
	ds_write_b64 v16, v[78:79] offset:23936                    // 00000000412C: D89A5D80 00004E10
	v_cvt_pk_bf16_f32 v104, v104, v105                         // 000000004134: D2680068 0002D368
	v_cvt_pk_bf16_f32 v105, v106, v107                         // 00000000413C: D2680069 0002D76A
	v_cvt_pk_bf16_f32 v106, v108, v109                         // 000000004144: D268006A 0002DB6C
	v_cvt_pk_bf16_f32 v107, v110, v111                         // 00000000414C: D268006B 0002DF6E
	v_cvt_pk_bf16_f32 v108, v112, v113                         // 000000004154: D268006C 0002E370
	v_cvt_pk_bf16_f32 v109, v114, v115                         // 00000000415C: D268006D 0002E772
	v_cvt_pk_bf16_f32 v110, v116, v117                         // 000000004164: D268006E 0002EB74
	v_cvt_pk_bf16_f32 v111, v118, v119                         // 00000000416C: D268006F 0002EF76
	v_cvt_pk_bf16_f32 v112, v120, v121                         // 000000004174: D2680070 0002F378
	v_cvt_pk_bf16_f32 v113, v122, v123                         // 00000000417C: D2680071 0002F77A
	v_cvt_pk_bf16_f32 v114, v124, v125                         // 000000004184: D2680072 0002FB7C
	v_cvt_pk_bf16_f32 v115, v126, v127                         // 00000000418C: D2680073 0002FF7E
	v_cvt_pk_bf16_f32 v116, v128, v129                         // 000000004194: D2680074 00030380
	v_cvt_pk_bf16_f32 v117, v130, v131                         // 00000000419C: D2680075 00030782
	v_cvt_pk_bf16_f32 v118, v132, v133                         // 0000000041A4: D2680076 00030B84
	v_cvt_pk_bf16_f32 v119, v134, v135                         // 0000000041AC: D2680077 00030F86
	v_cvt_pk_bf16_f32 v120, v136, v137                         // 0000000041B4: D2680078 00031388
	v_cvt_pk_bf16_f32 v121, v138, v139                         // 0000000041BC: D2680079 0003178A
	v_cvt_pk_bf16_f32 v122, v140, v141                         // 0000000041C4: D268007A 00031B8C
	v_cvt_pk_bf16_f32 v123, v142, v143                         // 0000000041CC: D268007B 00031F8E
	v_cvt_pk_bf16_f32 v124, v144, v145                         // 0000000041D4: D268007C 00032390
	v_cvt_pk_bf16_f32 v125, v146, v147                         // 0000000041DC: D268007D 00032792
	v_cvt_pk_bf16_f32 v126, v148, v149                         // 0000000041E4: D268007E 00032B94
	v_cvt_pk_bf16_f32 v127, v150, v151                         // 0000000041EC: D268007F 00032F96
	v_lshrrev_b32_e32 v4, 5, v0                                // 0000000041F4: 20080085
	v_xor_b32_e32 v5, 1, v4                                    // 0000000041F8: 2A0A0881
	s_mul_i32 s52, s61, 2                                      // 0000000041FC: 9234823D
	s_cmp_eq_u32 s74, 0                                        // 000000004200: BF06804A
	s_cselect_b32 s53, 1, 4                                    // 000000004204: 85358481
	s_mul_i32 s52, s53, s52                                    // 000000004208: 92343435
	v_readlane_b32 s72, v3, 0                                  // 00000000420C: D2890048 00010103
	s_mul_i32 s72, s72, s66                                    // 000000004214: 92484248
	v_mul_lo_u32 v6, v5, s72                                   // 000000004218: D2850006 00009105
	v_readlane_b32 s72, v3, 1                                  // 000000004220: D2890048 00010303
	s_mul_i32 s72, s72, s66                                    // 000000004228: 92484248
	v_mul_lo_u32 v7, v4, s72                                   // 00000000422C: D2850007 00009104
	v_add_u32_e32 v80, v6, v7                                  // 000000004234: 68A00F06
	v_readlane_b32 s72, v3, 2                                  // 000000004238: D2890048 00010503
	s_mul_i32 s72, s72, s66                                    // 000000004240: 92484248
	v_mul_lo_u32 v6, v5, s72                                   // 000000004244: D2850006 00009105
	v_readlane_b32 s72, v3, 3                                  // 00000000424C: D2890048 00010703
	s_mul_i32 s72, s72, s66                                    // 000000004254: 92484248
	v_mul_lo_u32 v7, v4, s72                                   // 000000004258: D2850007 00009104
	v_add_u32_e32 v81, v6, v7                                  // 000000004260: 68A20F06
	v_readlane_b32 s72, v3, 4                                  // 000000004264: D2890048 00010903
	s_mul_i32 s72, s72, s66                                    // 00000000426C: 92484248
	v_mul_lo_u32 v6, v5, s72                                   // 000000004270: D2850006 00009105
	v_readlane_b32 s72, v3, 5                                  // 000000004278: D2890048 00010B03
	s_mul_i32 s72, s72, s66                                    // 000000004280: 92484248
	v_mul_lo_u32 v7, v4, s72                                   // 000000004284: D2850007 00009104
	v_add_u32_e32 v82, v6, v7                                  // 00000000428C: 68A40F06
	v_readlane_b32 s72, v3, 6                                  // 000000004290: D2890048 00010D03
	s_mul_i32 s72, s72, s66                                    // 000000004298: 92484248
	v_mul_lo_u32 v6, v5, s72                                   // 00000000429C: D2850006 00009105
	v_readlane_b32 s72, v3, 7                                  // 0000000042A4: D2890048 00010F03
	s_mul_i32 s72, s72, s66                                    // 0000000042AC: 92484248
	v_mul_lo_u32 v7, v4, s72                                   // 0000000042B0: D2850007 00009104
	v_add_u32_e32 v83, v6, v7                                  // 0000000042B8: 68A60F06
	v_readlane_b32 s72, v3, 8                                  // 0000000042BC: D2890048 00011103
	s_mul_i32 s72, s72, s66                                    // 0000000042C4: 92484248
	v_mul_lo_u32 v6, v5, s72                                   // 0000000042C8: D2850006 00009105
	v_readlane_b32 s72, v3, 9                                  // 0000000042D0: D2890048 00011303
	s_mul_i32 s72, s72, s66                                    // 0000000042D8: 92484248
	v_mul_lo_u32 v7, v4, s72                                   // 0000000042DC: D2850007 00009104
	v_add_u32_e32 v84, v6, v7                                  // 0000000042E4: 68A80F06
	v_readlane_b32 s72, v3, 10                                 // 0000000042E8: D2890048 00011503
	s_mul_i32 s72, s72, s66                                    // 0000000042F0: 92484248
	v_mul_lo_u32 v6, v5, s72                                   // 0000000042F4: D2850006 00009105
	v_readlane_b32 s72, v3, 11                                 // 0000000042FC: D2890048 00011703
	s_mul_i32 s72, s72, s66                                    // 000000004304: 92484248
	v_mul_lo_u32 v7, v4, s72                                   // 000000004308: D2850007 00009104
	v_add_u32_e32 v85, v6, v7                                  // 000000004310: 68AA0F06
	v_readlane_b32 s72, v3, 12                                 // 000000004314: D2890048 00011903
	s_mul_i32 s72, s72, s66                                    // 00000000431C: 92484248
	v_mul_lo_u32 v6, v5, s72                                   // 000000004320: D2850006 00009105
	v_readlane_b32 s72, v3, 13                                 // 000000004328: D2890048 00011B03
	s_mul_i32 s72, s72, s66                                    // 000000004330: 92484248
	v_mul_lo_u32 v7, v4, s72                                   // 000000004334: D2850007 00009104
	v_add_u32_e32 v86, v6, v7                                  // 00000000433C: 68AC0F06
	v_readlane_b32 s72, v3, 14                                 // 000000004340: D2890048 00011D03
	s_mul_i32 s72, s72, s66                                    // 000000004348: 92484248
	v_mul_lo_u32 v6, v5, s72                                   // 00000000434C: D2850006 00009105
	v_readlane_b32 s72, v3, 15                                 // 000000004354: D2890048 00011F03
	s_mul_i32 s72, s72, s66                                    // 00000000435C: 92484248
	v_mul_lo_u32 v7, v4, s72                                   // 000000004360: D2850007 00009104
	v_add_u32_e32 v87, v6, v7                                  // 000000004368: 68AE0F06
	v_readlane_b32 s72, v3, 16                                 // 00000000436C: D2890048 00012103
	s_mul_i32 s72, s72, s66                                    // 000000004374: 92484248
	v_mul_lo_u32 v6, v5, s72                                   // 000000004378: D2850006 00009105
	v_readlane_b32 s72, v3, 17                                 // 000000004380: D2890048 00012303
	s_mul_i32 s72, s72, s66                                    // 000000004388: 92484248
	v_mul_lo_u32 v7, v4, s72                                   // 00000000438C: D2850007 00009104
	v_add_u32_e32 v88, v6, v7                                  // 000000004394: 68B00F06
	v_readlane_b32 s72, v3, 18                                 // 000000004398: D2890048 00012503
	s_mul_i32 s72, s72, s66                                    // 0000000043A0: 92484248
	v_mul_lo_u32 v6, v5, s72                                   // 0000000043A4: D2850006 00009105
	v_readlane_b32 s72, v3, 19                                 // 0000000043AC: D2890048 00012703
	s_mul_i32 s72, s72, s66                                    // 0000000043B4: 92484248
	v_mul_lo_u32 v7, v4, s72                                   // 0000000043B8: D2850007 00009104
	v_add_u32_e32 v89, v6, v7                                  // 0000000043C0: 68B20F06
	v_readlane_b32 s72, v3, 20                                 // 0000000043C4: D2890048 00012903
	s_mul_i32 s72, s72, s66                                    // 0000000043CC: 92484248
	v_mul_lo_u32 v6, v5, s72                                   // 0000000043D0: D2850006 00009105
	v_readlane_b32 s72, v3, 21                                 // 0000000043D8: D2890048 00012B03
	s_mul_i32 s72, s72, s66                                    // 0000000043E0: 92484248
	v_mul_lo_u32 v7, v4, s72                                   // 0000000043E4: D2850007 00009104
	v_add_u32_e32 v90, v6, v7                                  // 0000000043EC: 68B40F06
	v_readlane_b32 s72, v3, 22                                 // 0000000043F0: D2890048 00012D03
	s_mul_i32 s72, s72, s66                                    // 0000000043F8: 92484248
	v_mul_lo_u32 v6, v5, s72                                   // 0000000043FC: D2850006 00009105
	v_readlane_b32 s72, v3, 23                                 // 000000004404: D2890048 00012F03
	s_mul_i32 s72, s72, s66                                    // 00000000440C: 92484248
	v_mul_lo_u32 v7, v4, s72                                   // 000000004410: D2850007 00009104
	v_add_u32_e32 v91, v6, v7                                  // 000000004418: 68B60F06
	v_and_b32_e32 v4, 31, v0                                   // 00000000441C: 2608009F
	v_lshrrev_b32_e32 v4, 1, v4                                // 000000004420: 20080881
	s_cmp_eq_u32 s74, 0                                        // 000000004424: BF06804A
	s_cselect_b32 s53, 2, 4                                    // 000000004428: 85358482
	v_mul_lo_u32 v4, v4, s53                                   // 00000000442C: D2850004 00006B04
	v_and_b32_e64 v5, v0, 1                                    // 000000004434: D1130005 00010300
	v_add_u32_e32 v4, v4, v5                                   // 00000000443C: 68080B04
	v_lshlrev_b32_e32 v4, 2, v4                                // 000000004440: 24080882
	v_add_u32_e32 v80, v80, v4                                 // 000000004444: 68A00950
	v_add_u32_e32 v81, v81, v4                                 // 000000004448: 68A20951
	v_add_u32_e32 v82, v82, v4                                 // 00000000444C: 68A40952
	v_add_u32_e32 v83, v83, v4                                 // 000000004450: 68A60953
	v_add_u32_e32 v84, v84, v4                                 // 000000004454: 68A80954
	v_add_u32_e32 v85, v85, v4                                 // 000000004458: 68AA0955
	v_add_u32_e32 v86, v86, v4                                 // 00000000445C: 68AC0956
	v_add_u32_e32 v87, v87, v4                                 // 000000004460: 68AE0957
	v_add_u32_e32 v88, v88, v4                                 // 000000004464: 68B00958
	v_add_u32_e32 v89, v89, v4                                 // 000000004468: 68B20959
	v_add_u32_e32 v90, v90, v4                                 // 00000000446C: 68B4095A
	v_add_u32_e32 v91, v91, v4                                 // 000000004470: 68B6095B
	s_waitcnt lgkmcnt(0)                                       // 000000004474: BF8CC07F
	s_barrier                                                  // 000000004478: BF8A0000
	ds_read_b32 v56, v17                                       // 00000000447C: D86C0000 38000011
	ds_read_b32 v57, v17 offset:64                             // 000000004484: D86C0040 39000011
	ds_read_b32 v58, v17 offset:2176                           // 00000000448C: D86C0880 3A000011
	ds_read_b32 v59, v17 offset:2240                           // 000000004494: D86C08C0 3B000011
	ds_read_b32 v60, v17 offset:4352                           // 00000000449C: D86C1100 3C000011
	ds_read_b32 v61, v17 offset:4416                           // 0000000044A4: D86C1140 3D000011
	ds_read_b32 v62, v17 offset:6528                           // 0000000044AC: D86C1980 3E000011
	ds_read_b32 v63, v17 offset:6592                           // 0000000044B4: D86C19C0 3F000011
	ds_read_b32 v64, v17 offset:8704                           // 0000000044BC: D86C2200 40000011
	ds_read_b32 v65, v17 offset:8768                           // 0000000044C4: D86C2240 41000011
	ds_read_b32 v66, v17 offset:10880                          // 0000000044CC: D86C2A80 42000011
	ds_read_b32 v67, v17 offset:10944                          // 0000000044D4: D86C2AC0 43000011
	ds_read_b32 v68, v17 offset:13056                          // 0000000044DC: D86C3300 44000011
	ds_read_b32 v69, v17 offset:13120                          // 0000000044E4: D86C3340 45000011
	ds_read_b32 v70, v17 offset:15232                          // 0000000044EC: D86C3B80 46000011
	ds_read_b32 v71, v17 offset:15296                          // 0000000044F4: D86C3BC0 47000011
	ds_read_b32 v72, v17 offset:17408                          // 0000000044FC: D86C4400 48000011
	ds_read_b32 v73, v17 offset:17472                          // 000000004504: D86C4440 49000011
	ds_read_b32 v74, v17 offset:19584                          // 00000000450C: D86C4C80 4A000011
	ds_read_b32 v75, v17 offset:19648                          // 000000004514: D86C4CC0 4B000011
	ds_read_b32 v76, v17 offset:21760                          // 00000000451C: D86C5500 4C000011
	ds_read_b32 v77, v17 offset:21824                          // 000000004524: D86C5540 4D000011
	ds_read_b32 v78, v17 offset:23936                          // 00000000452C: D86C5D80 4E000011
	ds_read_b32 v79, v17 offset:24000                          // 000000004534: D86C5DC0 4F000011
	s_waitcnt lgkmcnt(0)                                       // 00000000453C: BF8CC07F
	s_mov_b32 s16, -1                                          // 000000004540: BE9000C1
	s_mov_b32 s17, -1                                          // 000000004544: BE9100C1
	v_mov_b32_e32 v7, 0                                        // 000000004548: 7E0E0280
	s_or_b32 s9, s9, 0x40000                                   // 00000000454C: 8709FF09 00040000
	s_mov_b64 exec, s[16:17]                                   // 000000004554: BEFE0110
	v_mov_b32_e32 v6, v80                                      // 000000004558: 7E0C0350
	s_mov_b64 s[52:53], 0                                      // 00000000455C: BEB40180
	v_readlane_b32 s72, v3, 0                                  // 000000004560: D2890048 00010103
	s_cmp_lt_u32 s72, s62                                      // 000000004568: BF0A3E48
	s_cselect_b32 s20, s16, s52                                // 00000000456C: 85143410
	v_readlane_b32 s72, v3, 1                                  // 000000004570: D2890048 00010303
	s_cmp_lt_u32 s72, s62                                      // 000000004578: BF0A3E48
	s_cselect_b32 s21, s16, s52                                // 00000000457C: 85153410
	s_mov_b64 exec, s[20:21]                                   // 000000004580: BEFE0114
	buffer_store_dword v56, v6, s[8:11], 0 offen               // 000000004584: E0701000 80023806
	buffer_store_dword v58, v6, s[8:11], 0 offen offset:128    // 00000000458C: E0701080 80023A06
	s_mov_b64 exec, s[16:17]                                   // 000000004594: BEFE0110
	v_mov_b32_e32 v6, v81                                      // 000000004598: 7E0C0351
	s_mov_b64 s[52:53], 0                                      // 00000000459C: BEB40180
	v_readlane_b32 s72, v3, 2                                  // 0000000045A0: D2890048 00010503
	s_cmp_lt_u32 s72, s62                                      // 0000000045A8: BF0A3E48
	s_cselect_b32 s20, s16, s52                                // 0000000045AC: 85143410
	v_readlane_b32 s72, v3, 3                                  // 0000000045B0: D2890048 00010703
	s_cmp_lt_u32 s72, s62                                      // 0000000045B8: BF0A3E48
	s_cselect_b32 s21, s16, s52                                // 0000000045BC: 85153410
	s_mov_b64 exec, s[20:21]                                   // 0000000045C0: BEFE0114
	buffer_store_dword v57, v6, s[8:11], 0 offen               // 0000000045C4: E0701000 80023906
	buffer_store_dword v59, v6, s[8:11], 0 offen offset:128    // 0000000045CC: E0701080 80023B06
	s_mov_b64 exec, s[16:17]                                   // 0000000045D4: BEFE0110
	v_mov_b32_e32 v6, v82                                      // 0000000045D8: 7E0C0352
	s_mov_b64 s[52:53], 0                                      // 0000000045DC: BEB40180
	v_readlane_b32 s72, v3, 4                                  // 0000000045E0: D2890048 00010903
	s_cmp_lt_u32 s72, s62                                      // 0000000045E8: BF0A3E48
	s_cselect_b32 s20, s16, s52                                // 0000000045EC: 85143410
	v_readlane_b32 s72, v3, 5                                  // 0000000045F0: D2890048 00010B03
	s_cmp_lt_u32 s72, s62                                      // 0000000045F8: BF0A3E48
	s_cselect_b32 s21, s16, s52                                // 0000000045FC: 85153410
	s_mov_b64 exec, s[20:21]                                   // 000000004600: BEFE0114
	buffer_store_dword v60, v6, s[8:11], 0 offen               // 000000004604: E0701000 80023C06
	buffer_store_dword v62, v6, s[8:11], 0 offen offset:128    // 00000000460C: E0701080 80023E06
	s_mov_b64 exec, s[16:17]                                   // 000000004614: BEFE0110
	v_mov_b32_e32 v6, v83                                      // 000000004618: 7E0C0353
	s_mov_b64 s[52:53], 0                                      // 00000000461C: BEB40180
	v_readlane_b32 s72, v3, 6                                  // 000000004620: D2890048 00010D03
	s_cmp_lt_u32 s72, s62                                      // 000000004628: BF0A3E48
	s_cselect_b32 s20, s16, s52                                // 00000000462C: 85143410
	v_readlane_b32 s72, v3, 7                                  // 000000004630: D2890048 00010F03
	s_cmp_lt_u32 s72, s62                                      // 000000004638: BF0A3E48
	s_cselect_b32 s21, s16, s52                                // 00000000463C: 85153410
	s_mov_b64 exec, s[20:21]                                   // 000000004640: BEFE0114
	buffer_store_dword v61, v6, s[8:11], 0 offen               // 000000004644: E0701000 80023D06
	buffer_store_dword v63, v6, s[8:11], 0 offen offset:128    // 00000000464C: E0701080 80023F06
	s_mov_b64 exec, s[16:17]                                   // 000000004654: BEFE0110
	v_mov_b32_e32 v6, v84                                      // 000000004658: 7E0C0354
	s_mov_b64 s[52:53], 0                                      // 00000000465C: BEB40180
	v_readlane_b32 s72, v3, 8                                  // 000000004660: D2890048 00011103
	s_cmp_lt_u32 s72, s62                                      // 000000004668: BF0A3E48
	s_cselect_b32 s20, s16, s52                                // 00000000466C: 85143410
	v_readlane_b32 s72, v3, 9                                  // 000000004670: D2890048 00011303
	s_cmp_lt_u32 s72, s62                                      // 000000004678: BF0A3E48
	s_cselect_b32 s21, s16, s52                                // 00000000467C: 85153410
	s_mov_b64 exec, s[20:21]                                   // 000000004680: BEFE0114
	buffer_store_dword v64, v6, s[8:11], 0 offen               // 000000004684: E0701000 80024006
	buffer_store_dword v66, v6, s[8:11], 0 offen offset:128    // 00000000468C: E0701080 80024206
	s_mov_b64 exec, s[16:17]                                   // 000000004694: BEFE0110
	v_mov_b32_e32 v6, v85                                      // 000000004698: 7E0C0355
	s_mov_b64 s[52:53], 0                                      // 00000000469C: BEB40180
	v_readlane_b32 s72, v3, 10                                 // 0000000046A0: D2890048 00011503
	s_cmp_lt_u32 s72, s62                                      // 0000000046A8: BF0A3E48
	s_cselect_b32 s20, s16, s52                                // 0000000046AC: 85143410
	v_readlane_b32 s72, v3, 11                                 // 0000000046B0: D2890048 00011703
	s_cmp_lt_u32 s72, s62                                      // 0000000046B8: BF0A3E48
	s_cselect_b32 s21, s16, s52                                // 0000000046BC: 85153410
	s_mov_b64 exec, s[20:21]                                   // 0000000046C0: BEFE0114
	buffer_store_dword v65, v6, s[8:11], 0 offen               // 0000000046C4: E0701000 80024106
	buffer_store_dword v67, v6, s[8:11], 0 offen offset:128    // 0000000046CC: E0701080 80024306
	s_mov_b64 exec, s[16:17]                                   // 0000000046D4: BEFE0110
	v_mov_b32_e32 v6, v86                                      // 0000000046D8: 7E0C0356
	s_mov_b64 s[52:53], 0                                      // 0000000046DC: BEB40180
	v_readlane_b32 s72, v3, 12                                 // 0000000046E0: D2890048 00011903
	s_cmp_lt_u32 s72, s62                                      // 0000000046E8: BF0A3E48
	s_cselect_b32 s20, s16, s52                                // 0000000046EC: 85143410
	v_readlane_b32 s72, v3, 13                                 // 0000000046F0: D2890048 00011B03
	s_cmp_lt_u32 s72, s62                                      // 0000000046F8: BF0A3E48
	s_cselect_b32 s21, s16, s52                                // 0000000046FC: 85153410
	s_mov_b64 exec, s[20:21]                                   // 000000004700: BEFE0114
	buffer_store_dword v68, v6, s[8:11], 0 offen               // 000000004704: E0701000 80024406
	buffer_store_dword v70, v6, s[8:11], 0 offen offset:128    // 00000000470C: E0701080 80024606
	s_mov_b64 exec, s[16:17]                                   // 000000004714: BEFE0110
	v_mov_b32_e32 v6, v87                                      // 000000004718: 7E0C0357
	s_mov_b64 s[52:53], 0                                      // 00000000471C: BEB40180
	v_readlane_b32 s72, v3, 14                                 // 000000004720: D2890048 00011D03
	s_cmp_lt_u32 s72, s62                                      // 000000004728: BF0A3E48
	s_cselect_b32 s20, s16, s52                                // 00000000472C: 85143410
	v_readlane_b32 s72, v3, 15                                 // 000000004730: D2890048 00011F03
	s_cmp_lt_u32 s72, s62                                      // 000000004738: BF0A3E48
	s_cselect_b32 s21, s16, s52                                // 00000000473C: 85153410
	s_mov_b64 exec, s[20:21]                                   // 000000004740: BEFE0114
	buffer_store_dword v69, v6, s[8:11], 0 offen               // 000000004744: E0701000 80024506
	buffer_store_dword v71, v6, s[8:11], 0 offen offset:128    // 00000000474C: E0701080 80024706
	s_mov_b64 exec, s[16:17]                                   // 000000004754: BEFE0110
	v_mov_b32_e32 v6, v88                                      // 000000004758: 7E0C0358
	s_mov_b64 s[52:53], 0                                      // 00000000475C: BEB40180
	v_readlane_b32 s72, v3, 16                                 // 000000004760: D2890048 00012103
	s_cmp_lt_u32 s72, s62                                      // 000000004768: BF0A3E48
	s_cselect_b32 s20, s16, s52                                // 00000000476C: 85143410
	v_readlane_b32 s72, v3, 17                                 // 000000004770: D2890048 00012303
	s_cmp_lt_u32 s72, s62                                      // 000000004778: BF0A3E48
	s_cselect_b32 s21, s16, s52                                // 00000000477C: 85153410
	s_mov_b64 exec, s[20:21]                                   // 000000004780: BEFE0114
	buffer_store_dword v72, v6, s[8:11], 0 offen               // 000000004784: E0701000 80024806
	buffer_store_dword v74, v6, s[8:11], 0 offen offset:128    // 00000000478C: E0701080 80024A06
	s_mov_b64 exec, s[16:17]                                   // 000000004794: BEFE0110
	v_mov_b32_e32 v6, v89                                      // 000000004798: 7E0C0359
	s_mov_b64 s[52:53], 0                                      // 00000000479C: BEB40180
	v_readlane_b32 s72, v3, 18                                 // 0000000047A0: D2890048 00012503
	s_cmp_lt_u32 s72, s62                                      // 0000000047A8: BF0A3E48
	s_cselect_b32 s20, s16, s52                                // 0000000047AC: 85143410
	v_readlane_b32 s72, v3, 19                                 // 0000000047B0: D2890048 00012703
	s_cmp_lt_u32 s72, s62                                      // 0000000047B8: BF0A3E48
	s_cselect_b32 s21, s16, s52                                // 0000000047BC: 85153410
	s_mov_b64 exec, s[20:21]                                   // 0000000047C0: BEFE0114
	buffer_store_dword v73, v6, s[8:11], 0 offen               // 0000000047C4: E0701000 80024906
	buffer_store_dword v75, v6, s[8:11], 0 offen offset:128    // 0000000047CC: E0701080 80024B06
	s_mov_b64 exec, s[16:17]                                   // 0000000047D4: BEFE0110
	v_mov_b32_e32 v6, v90                                      // 0000000047D8: 7E0C035A
	s_mov_b64 s[52:53], 0                                      // 0000000047DC: BEB40180
	v_readlane_b32 s72, v3, 20                                 // 0000000047E0: D2890048 00012903
	s_cmp_lt_u32 s72, s62                                      // 0000000047E8: BF0A3E48
	s_cselect_b32 s20, s16, s52                                // 0000000047EC: 85143410
	v_readlane_b32 s72, v3, 21                                 // 0000000047F0: D2890048 00012B03
	s_cmp_lt_u32 s72, s62                                      // 0000000047F8: BF0A3E48
	s_cselect_b32 s21, s16, s52                                // 0000000047FC: 85153410
	s_mov_b64 exec, s[20:21]                                   // 000000004800: BEFE0114
	buffer_store_dword v76, v6, s[8:11], 0 offen               // 000000004804: E0701000 80024C06
	buffer_store_dword v78, v6, s[8:11], 0 offen offset:128    // 00000000480C: E0701080 80024E06
	s_mov_b64 exec, s[16:17]                                   // 000000004814: BEFE0110
	v_mov_b32_e32 v6, v91                                      // 000000004818: 7E0C035B
	s_mov_b64 s[52:53], 0                                      // 00000000481C: BEB40180
	v_readlane_b32 s72, v3, 22                                 // 000000004820: D2890048 00012D03
	s_cmp_lt_u32 s72, s62                                      // 000000004828: BF0A3E48
	s_cselect_b32 s20, s16, s52                                // 00000000482C: 85143410
	v_readlane_b32 s72, v3, 23                                 // 000000004830: D2890048 00012F03
	s_cmp_lt_u32 s72, s62                                      // 000000004838: BF0A3E48
	s_cselect_b32 s21, s16, s52                                // 00000000483C: 85153410
	s_mov_b64 exec, s[20:21]                                   // 000000004840: BEFE0114
	buffer_store_dword v77, v6, s[8:11], 0 offen               // 000000004844: E0701000 80024D06
	buffer_store_dword v79, v6, s[8:11], 0 offen offset:128    // 00000000484C: E0701080 80024F06
	s_mov_b64 exec, s[16:17]                                   // 000000004854: BEFE0110
	s_waitcnt lgkmcnt(0)                                       // 000000004858: BF8CC07F
	s_barrier                                                  // 00000000485C: BF8A0000
	ds_write_b64 v16, v[104:105]                               // 000000004860: D89A0000 00006810
	ds_write_b64 v16, v[106:107] offset:4352                   // 000000004868: D89A1100 00006A10
	ds_write_b64 v16, v[108:109] offset:8704                   // 000000004870: D89A2200 00006C10
	ds_write_b64 v16, v[110:111] offset:13056                  // 000000004878: D89A3300 00006E10
	ds_write_b64 v16, v[112:113] offset:17408                  // 000000004880: D89A4400 00007010
	ds_write_b64 v16, v[114:115] offset:21760                  // 000000004888: D89A5500 00007210
	ds_write_b64 v16, v[116:117] offset:2176                   // 000000004890: D89A0880 00007410
	ds_write_b64 v16, v[118:119] offset:6528                   // 000000004898: D89A1980 00007610
	ds_write_b64 v16, v[120:121] offset:10880                  // 0000000048A0: D89A2A80 00007810
	ds_write_b64 v16, v[122:123] offset:15232                  // 0000000048A8: D89A3B80 00007A10
	ds_write_b64 v16, v[124:125] offset:19584                  // 0000000048B0: D89A4C80 00007C10
	ds_write_b64 v16, v[126:127] offset:23936                  // 0000000048B8: D89A5D80 00007E10
	s_waitcnt lgkmcnt(0)                                       // 0000000048C0: BF8CC07F
	s_barrier                                                  // 0000000048C4: BF8A0000
	ds_read_b32 v104, v17                                      // 0000000048C8: D86C0000 68000011
	ds_read_b32 v105, v17 offset:64                            // 0000000048D0: D86C0040 69000011
	ds_read_b32 v106, v17 offset:2176                          // 0000000048D8: D86C0880 6A000011
	ds_read_b32 v107, v17 offset:2240                          // 0000000048E0: D86C08C0 6B000011
	ds_read_b32 v108, v17 offset:4352                          // 0000000048E8: D86C1100 6C000011
	ds_read_b32 v109, v17 offset:4416                          // 0000000048F0: D86C1140 6D000011
	ds_read_b32 v110, v17 offset:6528                          // 0000000048F8: D86C1980 6E000011
	ds_read_b32 v111, v17 offset:6592                          // 000000004900: D86C19C0 6F000011
	ds_read_b32 v112, v17 offset:8704                          // 000000004908: D86C2200 70000011
	ds_read_b32 v113, v17 offset:8768                          // 000000004910: D86C2240 71000011
	ds_read_b32 v114, v17 offset:10880                         // 000000004918: D86C2A80 72000011
	ds_read_b32 v115, v17 offset:10944                         // 000000004920: D86C2AC0 73000011
	ds_read_b32 v116, v17 offset:13056                         // 000000004928: D86C3300 74000011
	ds_read_b32 v117, v17 offset:13120                         // 000000004930: D86C3340 75000011
	ds_read_b32 v118, v17 offset:15232                         // 000000004938: D86C3B80 76000011
	ds_read_b32 v119, v17 offset:15296                         // 000000004940: D86C3BC0 77000011
	ds_read_b32 v120, v17 offset:17408                         // 000000004948: D86C4400 78000011
	ds_read_b32 v121, v17 offset:17472                         // 000000004950: D86C4440 79000011
	ds_read_b32 v122, v17 offset:19584                         // 000000004958: D86C4C80 7A000011
	ds_read_b32 v123, v17 offset:19648                         // 000000004960: D86C4CC0 7B000011
	ds_read_b32 v124, v17 offset:21760                         // 000000004968: D86C5500 7C000011
	ds_read_b32 v125, v17 offset:21824                         // 000000004970: D86C5540 7D000011
	ds_read_b32 v126, v17 offset:23936                         // 000000004978: D86C5D80 7E000011
	ds_read_b32 v127, v17 offset:24000                         // 000000004980: D86C5DC0 7F000011
	s_waitcnt lgkmcnt(0)                                       // 000000004988: BF8CC07F
	s_mov_b32 s16, -1                                          // 00000000498C: BE9000C1
	s_mov_b32 s17, -1                                          // 000000004990: BE9100C1
	v_mov_b32_e32 v7, 0                                        // 000000004994: 7E0E0280
	s_add_u32 s8, 0x100, s8                                    // 000000004998: 800808FF 00000100
	s_addc_u32 s9, 0, s9                                       // 0000000049A0: 82090980
	s_or_b32 s9, s9, 0x40000                                   // 0000000049A4: 8709FF09 00040000
	s_mov_b64 exec, s[16:17]                                   // 0000000049AC: BEFE0110
	v_mov_b32_e32 v6, v80                                      // 0000000049B0: 7E0C0350
	s_mov_b64 s[52:53], 0                                      // 0000000049B4: BEB40180
	v_readlane_b32 s72, v3, 0                                  // 0000000049B8: D2890048 00010103
	s_cmp_lt_u32 s72, s62                                      // 0000000049C0: BF0A3E48
	s_cselect_b32 s20, s16, s52                                // 0000000049C4: 85143410
	v_readlane_b32 s72, v3, 1                                  // 0000000049C8: D2890048 00010303
	s_cmp_lt_u32 s72, s62                                      // 0000000049D0: BF0A3E48
	s_cselect_b32 s21, s16, s52                                // 0000000049D4: 85153410
	s_mov_b64 exec, s[20:21]                                   // 0000000049D8: BEFE0114
	buffer_store_dword v104, v6, s[8:11], 0 offen              // 0000000049DC: E0701000 80026806
	buffer_store_dword v106, v6, s[8:11], 0 offen offset:128   // 0000000049E4: E0701080 80026A06
	s_mov_b64 exec, s[16:17]                                   // 0000000049EC: BEFE0110
	v_mov_b32_e32 v6, v81                                      // 0000000049F0: 7E0C0351
	s_mov_b64 s[52:53], 0                                      // 0000000049F4: BEB40180
	v_readlane_b32 s72, v3, 2                                  // 0000000049F8: D2890048 00010503
	s_cmp_lt_u32 s72, s62                                      // 000000004A00: BF0A3E48
	s_cselect_b32 s20, s16, s52                                // 000000004A04: 85143410
	v_readlane_b32 s72, v3, 3                                  // 000000004A08: D2890048 00010703
	s_cmp_lt_u32 s72, s62                                      // 000000004A10: BF0A3E48
	s_cselect_b32 s21, s16, s52                                // 000000004A14: 85153410
	s_mov_b64 exec, s[20:21]                                   // 000000004A18: BEFE0114
	buffer_store_dword v105, v6, s[8:11], 0 offen              // 000000004A1C: E0701000 80026906
	buffer_store_dword v107, v6, s[8:11], 0 offen offset:128   // 000000004A24: E0701080 80026B06
	s_mov_b64 exec, s[16:17]                                   // 000000004A2C: BEFE0110
	v_mov_b32_e32 v6, v82                                      // 000000004A30: 7E0C0352
	s_mov_b64 s[52:53], 0                                      // 000000004A34: BEB40180
	v_readlane_b32 s72, v3, 4                                  // 000000004A38: D2890048 00010903
	s_cmp_lt_u32 s72, s62                                      // 000000004A40: BF0A3E48
	s_cselect_b32 s20, s16, s52                                // 000000004A44: 85143410
	v_readlane_b32 s72, v3, 5                                  // 000000004A48: D2890048 00010B03
	s_cmp_lt_u32 s72, s62                                      // 000000004A50: BF0A3E48
	s_cselect_b32 s21, s16, s52                                // 000000004A54: 85153410
	s_mov_b64 exec, s[20:21]                                   // 000000004A58: BEFE0114
	buffer_store_dword v108, v6, s[8:11], 0 offen              // 000000004A5C: E0701000 80026C06
	buffer_store_dword v110, v6, s[8:11], 0 offen offset:128   // 000000004A64: E0701080 80026E06
	s_mov_b64 exec, s[16:17]                                   // 000000004A6C: BEFE0110
	v_mov_b32_e32 v6, v83                                      // 000000004A70: 7E0C0353
	s_mov_b64 s[52:53], 0                                      // 000000004A74: BEB40180
	v_readlane_b32 s72, v3, 6                                  // 000000004A78: D2890048 00010D03
	s_cmp_lt_u32 s72, s62                                      // 000000004A80: BF0A3E48
	s_cselect_b32 s20, s16, s52                                // 000000004A84: 85143410
	v_readlane_b32 s72, v3, 7                                  // 000000004A88: D2890048 00010F03
	s_cmp_lt_u32 s72, s62                                      // 000000004A90: BF0A3E48
	s_cselect_b32 s21, s16, s52                                // 000000004A94: 85153410
	s_mov_b64 exec, s[20:21]                                   // 000000004A98: BEFE0114
	buffer_store_dword v109, v6, s[8:11], 0 offen              // 000000004A9C: E0701000 80026D06
	buffer_store_dword v111, v6, s[8:11], 0 offen offset:128   // 000000004AA4: E0701080 80026F06
	s_mov_b64 exec, s[16:17]                                   // 000000004AAC: BEFE0110
	v_mov_b32_e32 v6, v84                                      // 000000004AB0: 7E0C0354
	s_mov_b64 s[52:53], 0                                      // 000000004AB4: BEB40180
	v_readlane_b32 s72, v3, 8                                  // 000000004AB8: D2890048 00011103
	s_cmp_lt_u32 s72, s62                                      // 000000004AC0: BF0A3E48
	s_cselect_b32 s20, s16, s52                                // 000000004AC4: 85143410
	v_readlane_b32 s72, v3, 9                                  // 000000004AC8: D2890048 00011303
	s_cmp_lt_u32 s72, s62                                      // 000000004AD0: BF0A3E48
	s_cselect_b32 s21, s16, s52                                // 000000004AD4: 85153410
	s_mov_b64 exec, s[20:21]                                   // 000000004AD8: BEFE0114
	buffer_store_dword v112, v6, s[8:11], 0 offen              // 000000004ADC: E0701000 80027006
	buffer_store_dword v114, v6, s[8:11], 0 offen offset:128   // 000000004AE4: E0701080 80027206
	s_mov_b64 exec, s[16:17]                                   // 000000004AEC: BEFE0110
	v_mov_b32_e32 v6, v85                                      // 000000004AF0: 7E0C0355
	s_mov_b64 s[52:53], 0                                      // 000000004AF4: BEB40180
	v_readlane_b32 s72, v3, 10                                 // 000000004AF8: D2890048 00011503
	s_cmp_lt_u32 s72, s62                                      // 000000004B00: BF0A3E48
	s_cselect_b32 s20, s16, s52                                // 000000004B04: 85143410
	v_readlane_b32 s72, v3, 11                                 // 000000004B08: D2890048 00011703
	s_cmp_lt_u32 s72, s62                                      // 000000004B10: BF0A3E48
	s_cselect_b32 s21, s16, s52                                // 000000004B14: 85153410
	s_mov_b64 exec, s[20:21]                                   // 000000004B18: BEFE0114
	buffer_store_dword v113, v6, s[8:11], 0 offen              // 000000004B1C: E0701000 80027106
	buffer_store_dword v115, v6, s[8:11], 0 offen offset:128   // 000000004B24: E0701080 80027306
	s_mov_b64 exec, s[16:17]                                   // 000000004B2C: BEFE0110
	v_mov_b32_e32 v6, v86                                      // 000000004B30: 7E0C0356
	s_mov_b64 s[52:53], 0                                      // 000000004B34: BEB40180
	v_readlane_b32 s72, v3, 12                                 // 000000004B38: D2890048 00011903
	s_cmp_lt_u32 s72, s62                                      // 000000004B40: BF0A3E48
	s_cselect_b32 s20, s16, s52                                // 000000004B44: 85143410
	v_readlane_b32 s72, v3, 13                                 // 000000004B48: D2890048 00011B03
	s_cmp_lt_u32 s72, s62                                      // 000000004B50: BF0A3E48
	s_cselect_b32 s21, s16, s52                                // 000000004B54: 85153410
	s_mov_b64 exec, s[20:21]                                   // 000000004B58: BEFE0114
	buffer_store_dword v116, v6, s[8:11], 0 offen              // 000000004B5C: E0701000 80027406
	buffer_store_dword v118, v6, s[8:11], 0 offen offset:128   // 000000004B64: E0701080 80027606
	s_mov_b64 exec, s[16:17]                                   // 000000004B6C: BEFE0110
	v_mov_b32_e32 v6, v87                                      // 000000004B70: 7E0C0357
	s_mov_b64 s[52:53], 0                                      // 000000004B74: BEB40180
	v_readlane_b32 s72, v3, 14                                 // 000000004B78: D2890048 00011D03
	s_cmp_lt_u32 s72, s62                                      // 000000004B80: BF0A3E48
	s_cselect_b32 s20, s16, s52                                // 000000004B84: 85143410
	v_readlane_b32 s72, v3, 15                                 // 000000004B88: D2890048 00011F03
	s_cmp_lt_u32 s72, s62                                      // 000000004B90: BF0A3E48
	s_cselect_b32 s21, s16, s52                                // 000000004B94: 85153410
	s_mov_b64 exec, s[20:21]                                   // 000000004B98: BEFE0114
	buffer_store_dword v117, v6, s[8:11], 0 offen              // 000000004B9C: E0701000 80027506
	buffer_store_dword v119, v6, s[8:11], 0 offen offset:128   // 000000004BA4: E0701080 80027706
	s_mov_b64 exec, s[16:17]                                   // 000000004BAC: BEFE0110
	v_mov_b32_e32 v6, v88                                      // 000000004BB0: 7E0C0358
	s_mov_b64 s[52:53], 0                                      // 000000004BB4: BEB40180
	v_readlane_b32 s72, v3, 16                                 // 000000004BB8: D2890048 00012103
	s_cmp_lt_u32 s72, s62                                      // 000000004BC0: BF0A3E48
	s_cselect_b32 s20, s16, s52                                // 000000004BC4: 85143410
	v_readlane_b32 s72, v3, 17                                 // 000000004BC8: D2890048 00012303
	s_cmp_lt_u32 s72, s62                                      // 000000004BD0: BF0A3E48
	s_cselect_b32 s21, s16, s52                                // 000000004BD4: 85153410
	s_mov_b64 exec, s[20:21]                                   // 000000004BD8: BEFE0114
	buffer_store_dword v120, v6, s[8:11], 0 offen              // 000000004BDC: E0701000 80027806
	buffer_store_dword v122, v6, s[8:11], 0 offen offset:128   // 000000004BE4: E0701080 80027A06
	s_mov_b64 exec, s[16:17]                                   // 000000004BEC: BEFE0110
	v_mov_b32_e32 v6, v89                                      // 000000004BF0: 7E0C0359
	s_mov_b64 s[52:53], 0                                      // 000000004BF4: BEB40180
	v_readlane_b32 s72, v3, 18                                 // 000000004BF8: D2890048 00012503
	s_cmp_lt_u32 s72, s62                                      // 000000004C00: BF0A3E48
	s_cselect_b32 s20, s16, s52                                // 000000004C04: 85143410
	v_readlane_b32 s72, v3, 19                                 // 000000004C08: D2890048 00012703
	s_cmp_lt_u32 s72, s62                                      // 000000004C10: BF0A3E48
	s_cselect_b32 s21, s16, s52                                // 000000004C14: 85153410
	s_mov_b64 exec, s[20:21]                                   // 000000004C18: BEFE0114
	buffer_store_dword v121, v6, s[8:11], 0 offen              // 000000004C1C: E0701000 80027906
	buffer_store_dword v123, v6, s[8:11], 0 offen offset:128   // 000000004C24: E0701080 80027B06
	s_mov_b64 exec, s[16:17]                                   // 000000004C2C: BEFE0110
	v_mov_b32_e32 v6, v90                                      // 000000004C30: 7E0C035A
	s_mov_b64 s[52:53], 0                                      // 000000004C34: BEB40180
	v_readlane_b32 s72, v3, 20                                 // 000000004C38: D2890048 00012903
	s_cmp_lt_u32 s72, s62                                      // 000000004C40: BF0A3E48
	s_cselect_b32 s20, s16, s52                                // 000000004C44: 85143410
	v_readlane_b32 s72, v3, 21                                 // 000000004C48: D2890048 00012B03
	s_cmp_lt_u32 s72, s62                                      // 000000004C50: BF0A3E48
	s_cselect_b32 s21, s16, s52                                // 000000004C54: 85153410
	s_mov_b64 exec, s[20:21]                                   // 000000004C58: BEFE0114
	buffer_store_dword v124, v6, s[8:11], 0 offen              // 000000004C5C: E0701000 80027C06
	buffer_store_dword v126, v6, s[8:11], 0 offen offset:128   // 000000004C64: E0701080 80027E06
	s_mov_b64 exec, s[16:17]                                   // 000000004C6C: BEFE0110
	v_mov_b32_e32 v6, v91                                      // 000000004C70: 7E0C035B
	s_mov_b64 s[52:53], 0                                      // 000000004C74: BEB40180
	v_readlane_b32 s72, v3, 22                                 // 000000004C78: D2890048 00012D03
	s_cmp_lt_u32 s72, s62                                      // 000000004C80: BF0A3E48
	s_cselect_b32 s20, s16, s52                                // 000000004C84: 85143410
	v_readlane_b32 s72, v3, 23                                 // 000000004C88: D2890048 00012F03
	s_cmp_lt_u32 s72, s62                                      // 000000004C90: BF0A3E48
	s_cselect_b32 s21, s16, s52                                // 000000004C94: 85153410
	s_mov_b64 exec, s[20:21]                                   // 000000004C98: BEFE0114
	buffer_store_dword v125, v6, s[8:11], 0 offen              // 000000004C9C: E0701000 80027D06
	buffer_store_dword v127, v6, s[8:11], 0 offen offset:128   // 000000004CA4: E0701080 80027F06
	s_mov_b64 exec, s[16:17]                                   // 000000004CAC: BEFE0110
	s_branch label_18F7                                        // 000000004CB0: BF821007

0000000000004cb4 <label_08ED>:
	ds_write_b64 v16, v[56:57]                                 // 000000004CB4: D89A0000 00003810
	ds_write_b64 v16, v[60:61] offset:4352                     // 000000004CBC: D89A1100 00003C10
	ds_write_b64 v16, v[64:65] offset:8704                     // 000000004CC4: D89A2200 00004010
	ds_write_b64 v16, v[68:69] offset:13056                    // 000000004CCC: D89A3300 00004410
	ds_write_b64 v16, v[72:73] offset:17408                    // 000000004CD4: D89A4400 00004810
	ds_write_b64 v16, v[76:77] offset:21760                    // 000000004CDC: D89A5500 00004C10
	ds_write_b64 v16, v[80:81] offset:2176                     // 000000004CE4: D89A0880 00005010
	ds_write_b64 v16, v[84:85] offset:6528                     // 000000004CEC: D89A1980 00005410
	ds_write_b64 v16, v[88:89] offset:10880                    // 000000004CF4: D89A2A80 00005810
	ds_write_b64 v16, v[92:93] offset:15232                    // 000000004CFC: D89A3B80 00005C10
	ds_write_b64 v16, v[96:97] offset:19584                    // 000000004D04: D89A4C80 00006010
	ds_write_b64 v16, v[100:101] offset:23936                  // 000000004D0C: D89A5D80 00006410
	v_lshrrev_b32_e32 v4, 5, v0                                // 000000004D14: 20080085
	v_xor_b32_e32 v5, 1, v4                                    // 000000004D18: 2A0A0881
	s_mul_i32 s52, s61, 2                                      // 000000004D1C: 9234823D
	s_cmp_eq_u32 s74, 0                                        // 000000004D20: BF06804A
	s_cselect_b32 s53, 1, 4                                    // 000000004D24: 85358481
	s_mul_i32 s52, s53, s52                                    // 000000004D28: 92343435
	v_readlane_b32 s72, v3, 0                                  // 000000004D2C: D2890048 00010103
	s_mul_i32 s72, s72, s66                                    // 000000004D34: 92484248
	v_mul_lo_u32 v6, v5, s72                                   // 000000004D38: D2850006 00009105
	v_readlane_b32 s72, v3, 1                                  // 000000004D40: D2890048 00010303
	s_mul_i32 s72, s72, s66                                    // 000000004D48: 92484248
	v_mul_lo_u32 v7, v4, s72                                   // 000000004D4C: D2850007 00009104
	v_add_u32_e32 v80, v6, v7                                  // 000000004D54: 68A00F06
	v_readlane_b32 s72, v3, 2                                  // 000000004D58: D2890048 00010503
	s_mul_i32 s72, s72, s66                                    // 000000004D60: 92484248
	v_mul_lo_u32 v6, v5, s72                                   // 000000004D64: D2850006 00009105
	v_readlane_b32 s72, v3, 3                                  // 000000004D6C: D2890048 00010703
	s_mul_i32 s72, s72, s66                                    // 000000004D74: 92484248
	v_mul_lo_u32 v7, v4, s72                                   // 000000004D78: D2850007 00009104
	v_add_u32_e32 v81, v6, v7                                  // 000000004D80: 68A20F06
	v_readlane_b32 s72, v3, 4                                  // 000000004D84: D2890048 00010903
	s_mul_i32 s72, s72, s66                                    // 000000004D8C: 92484248
	v_mul_lo_u32 v6, v5, s72                                   // 000000004D90: D2850006 00009105
	v_readlane_b32 s72, v3, 5                                  // 000000004D98: D2890048 00010B03
	s_mul_i32 s72, s72, s66                                    // 000000004DA0: 92484248
	v_mul_lo_u32 v7, v4, s72                                   // 000000004DA4: D2850007 00009104
	v_add_u32_e32 v82, v6, v7                                  // 000000004DAC: 68A40F06
	v_readlane_b32 s72, v3, 6                                  // 000000004DB0: D2890048 00010D03
	s_mul_i32 s72, s72, s66                                    // 000000004DB8: 92484248
	v_mul_lo_u32 v6, v5, s72                                   // 000000004DBC: D2850006 00009105
	v_readlane_b32 s72, v3, 7                                  // 000000004DC4: D2890048 00010F03
	s_mul_i32 s72, s72, s66                                    // 000000004DCC: 92484248
	v_mul_lo_u32 v7, v4, s72                                   // 000000004DD0: D2850007 00009104
	v_add_u32_e32 v83, v6, v7                                  // 000000004DD8: 68A60F06
	v_readlane_b32 s72, v3, 8                                  // 000000004DDC: D2890048 00011103
	s_mul_i32 s72, s72, s66                                    // 000000004DE4: 92484248
	v_mul_lo_u32 v6, v5, s72                                   // 000000004DE8: D2850006 00009105
	v_readlane_b32 s72, v3, 9                                  // 000000004DF0: D2890048 00011303
	s_mul_i32 s72, s72, s66                                    // 000000004DF8: 92484248
	v_mul_lo_u32 v7, v4, s72                                   // 000000004DFC: D2850007 00009104
	v_add_u32_e32 v84, v6, v7                                  // 000000004E04: 68A80F06
	v_readlane_b32 s72, v3, 10                                 // 000000004E08: D2890048 00011503
	s_mul_i32 s72, s72, s66                                    // 000000004E10: 92484248
	v_mul_lo_u32 v6, v5, s72                                   // 000000004E14: D2850006 00009105
	v_readlane_b32 s72, v3, 11                                 // 000000004E1C: D2890048 00011703
	s_mul_i32 s72, s72, s66                                    // 000000004E24: 92484248
	v_mul_lo_u32 v7, v4, s72                                   // 000000004E28: D2850007 00009104
	v_add_u32_e32 v85, v6, v7                                  // 000000004E30: 68AA0F06
	v_readlane_b32 s72, v3, 12                                 // 000000004E34: D2890048 00011903
	s_mul_i32 s72, s72, s66                                    // 000000004E3C: 92484248
	v_mul_lo_u32 v6, v5, s72                                   // 000000004E40: D2850006 00009105
	v_readlane_b32 s72, v3, 13                                 // 000000004E48: D2890048 00011B03
	s_mul_i32 s72, s72, s66                                    // 000000004E50: 92484248
	v_mul_lo_u32 v7, v4, s72                                   // 000000004E54: D2850007 00009104
	v_add_u32_e32 v86, v6, v7                                  // 000000004E5C: 68AC0F06
	v_readlane_b32 s72, v3, 14                                 // 000000004E60: D2890048 00011D03
	s_mul_i32 s72, s72, s66                                    // 000000004E68: 92484248
	v_mul_lo_u32 v6, v5, s72                                   // 000000004E6C: D2850006 00009105
	v_readlane_b32 s72, v3, 15                                 // 000000004E74: D2890048 00011F03
	s_mul_i32 s72, s72, s66                                    // 000000004E7C: 92484248
	v_mul_lo_u32 v7, v4, s72                                   // 000000004E80: D2850007 00009104
	v_add_u32_e32 v87, v6, v7                                  // 000000004E88: 68AE0F06
	v_readlane_b32 s72, v3, 16                                 // 000000004E8C: D2890048 00012103
	s_mul_i32 s72, s72, s66                                    // 000000004E94: 92484248
	v_mul_lo_u32 v6, v5, s72                                   // 000000004E98: D2850006 00009105
	v_readlane_b32 s72, v3, 17                                 // 000000004EA0: D2890048 00012303
	s_mul_i32 s72, s72, s66                                    // 000000004EA8: 92484248
	v_mul_lo_u32 v7, v4, s72                                   // 000000004EAC: D2850007 00009104
	v_add_u32_e32 v88, v6, v7                                  // 000000004EB4: 68B00F06
	v_readlane_b32 s72, v3, 18                                 // 000000004EB8: D2890048 00012503
	s_mul_i32 s72, s72, s66                                    // 000000004EC0: 92484248
	v_mul_lo_u32 v6, v5, s72                                   // 000000004EC4: D2850006 00009105
	v_readlane_b32 s72, v3, 19                                 // 000000004ECC: D2890048 00012703
	s_mul_i32 s72, s72, s66                                    // 000000004ED4: 92484248
	v_mul_lo_u32 v7, v4, s72                                   // 000000004ED8: D2850007 00009104
	v_add_u32_e32 v89, v6, v7                                  // 000000004EE0: 68B20F06
	v_readlane_b32 s72, v3, 20                                 // 000000004EE4: D2890048 00012903
	s_mul_i32 s72, s72, s66                                    // 000000004EEC: 92484248
	v_mul_lo_u32 v6, v5, s72                                   // 000000004EF0: D2850006 00009105
	v_readlane_b32 s72, v3, 21                                 // 000000004EF8: D2890048 00012B03
	s_mul_i32 s72, s72, s66                                    // 000000004F00: 92484248
	v_mul_lo_u32 v7, v4, s72                                   // 000000004F04: D2850007 00009104
	v_add_u32_e32 v90, v6, v7                                  // 000000004F0C: 68B40F06
	v_readlane_b32 s72, v3, 22                                 // 000000004F10: D2890048 00012D03
	s_mul_i32 s72, s72, s66                                    // 000000004F18: 92484248
	v_mul_lo_u32 v6, v5, s72                                   // 000000004F1C: D2850006 00009105
	v_readlane_b32 s72, v3, 23                                 // 000000004F24: D2890048 00012F03
	s_mul_i32 s72, s72, s66                                    // 000000004F2C: 92484248
	v_mul_lo_u32 v7, v4, s72                                   // 000000004F30: D2850007 00009104
	v_add_u32_e32 v91, v6, v7                                  // 000000004F38: 68B60F06
	v_and_b32_e32 v4, 31, v0                                   // 000000004F3C: 2608009F
	v_lshrrev_b32_e32 v4, 1, v4                                // 000000004F40: 20080881
	s_cmp_eq_u32 s74, 0                                        // 000000004F44: BF06804A
	s_cselect_b32 s53, 2, 4                                    // 000000004F48: 85358482
	v_mul_lo_u32 v4, v4, s53                                   // 000000004F4C: D2850004 00006B04
	v_and_b32_e64 v5, v0, 1                                    // 000000004F54: D1130005 00010300
	v_add_u32_e32 v4, v4, v5                                   // 000000004F5C: 68080B04
	v_lshlrev_b32_e32 v4, 2, v4                                // 000000004F60: 24080882
	v_add_u32_e32 v80, v80, v4                                 // 000000004F64: 68A00950
	v_add_u32_e32 v81, v81, v4                                 // 000000004F68: 68A20951
	v_add_u32_e32 v82, v82, v4                                 // 000000004F6C: 68A40952
	v_add_u32_e32 v83, v83, v4                                 // 000000004F70: 68A60953
	v_add_u32_e32 v84, v84, v4                                 // 000000004F74: 68A80954
	v_add_u32_e32 v85, v85, v4                                 // 000000004F78: 68AA0955
	v_add_u32_e32 v86, v86, v4                                 // 000000004F7C: 68AC0956
	v_add_u32_e32 v87, v87, v4                                 // 000000004F80: 68AE0957
	v_add_u32_e32 v88, v88, v4                                 // 000000004F84: 68B00958
	v_add_u32_e32 v89, v89, v4                                 // 000000004F88: 68B20959
	v_add_u32_e32 v90, v90, v4                                 // 000000004F8C: 68B4095A
	v_add_u32_e32 v91, v91, v4                                 // 000000004F90: 68B6095B
	s_waitcnt lgkmcnt(0)                                       // 000000004F94: BF8CC07F
	s_barrier                                                  // 000000004F98: BF8A0000
	ds_read_b32 v56, v17                                       // 000000004F9C: D86C0000 38000011
	ds_read_b32 v57, v17 offset:64                             // 000000004FA4: D86C0040 39000011
	ds_read_b32 v60, v17 offset:2176                           // 000000004FAC: D86C0880 3C000011
	ds_read_b32 v61, v17 offset:2240                           // 000000004FB4: D86C08C0 3D000011
	ds_read_b32 v64, v17 offset:4352                           // 000000004FBC: D86C1100 40000011
	ds_read_b32 v65, v17 offset:4416                           // 000000004FC4: D86C1140 41000011
	ds_read_b32 v68, v17 offset:6528                           // 000000004FCC: D86C1980 44000011
	ds_read_b32 v69, v17 offset:6592                           // 000000004FD4: D86C19C0 45000011
	ds_read_b32 v72, v17 offset:8704                           // 000000004FDC: D86C2200 48000011
	ds_read_b32 v73, v17 offset:8768                           // 000000004FE4: D86C2240 49000011
	ds_read_b32 v76, v17 offset:10880                          // 000000004FEC: D86C2A80 4C000011
	ds_read_b32 v77, v17 offset:10944                          // 000000004FF4: D86C2AC0 4D000011
	ds_read_b32 v80, v17 offset:13056                          // 000000004FFC: D86C3300 50000011
	ds_read_b32 v81, v17 offset:13120                          // 000000005004: D86C3340 51000011
	ds_read_b32 v84, v17 offset:15232                          // 00000000500C: D86C3B80 54000011
	ds_read_b32 v85, v17 offset:15296                          // 000000005014: D86C3BC0 55000011
	ds_read_b32 v88, v17 offset:17408                          // 00000000501C: D86C4400 58000011
	ds_read_b32 v89, v17 offset:17472                          // 000000005024: D86C4440 59000011
	ds_read_b32 v92, v17 offset:19584                          // 00000000502C: D86C4C80 5C000011
	ds_read_b32 v93, v17 offset:19648                          // 000000005034: D86C4CC0 5D000011
	ds_read_b32 v96, v17 offset:21760                          // 00000000503C: D86C5500 60000011
	ds_read_b32 v97, v17 offset:21824                          // 000000005044: D86C5540 61000011
	ds_read_b32 v100, v17 offset:23936                         // 00000000504C: D86C5D80 64000011
	ds_read_b32 v101, v17 offset:24000                         // 000000005054: D86C5DC0 65000011
	s_waitcnt lgkmcnt(0)                                       // 00000000505C: BF8CC07F
	s_mov_b32 s16, -1                                          // 000000005060: BE9000C1
	s_mov_b32 s17, -1                                          // 000000005064: BE9100C1
	v_mov_b32_e32 v7, 0                                        // 000000005068: 7E0E0280
	s_mov_b64 exec, s[16:17]                                   // 00000000506C: BEFE0110
	v_mov_b32_e32 v6, v80                                      // 000000005070: 7E0C0350
	s_mov_b64 s[52:53], 0                                      // 000000005074: BEB40180
	v_readlane_b32 s72, v3, 0                                  // 000000005078: D2890048 00010103
	s_cmp_lt_u32 s72, s62                                      // 000000005080: BF0A3E48
	s_cselect_b32 s20, s16, s52                                // 000000005084: 85143410
	v_readlane_b32 s72, v3, 1                                  // 000000005088: D2890048 00010303
	s_cmp_lt_u32 s72, s62                                      // 000000005090: BF0A3E48
	s_cselect_b32 s21, s16, s52                                // 000000005094: 85153410
	s_mov_b64 exec, s[20:21]                                   // 000000005098: BEFE0114
	global_atomic_add_f32 v6, v56, s[8:9]                      // 00000000509C: DD348000 00083806
	global_atomic_add_f32 v6, v60, s[8:9] offset:256           // 0000000050A4: DD348100 00083C06
	s_mov_b64 exec, s[16:17]                                   // 0000000050AC: BEFE0110
	v_mov_b32_e32 v6, v81                                      // 0000000050B0: 7E0C0351
	s_mov_b64 s[52:53], 0                                      // 0000000050B4: BEB40180
	v_readlane_b32 s72, v3, 2                                  // 0000000050B8: D2890048 00010503
	s_cmp_lt_u32 s72, s62                                      // 0000000050C0: BF0A3E48
	s_cselect_b32 s20, s16, s52                                // 0000000050C4: 85143410
	v_readlane_b32 s72, v3, 3                                  // 0000000050C8: D2890048 00010703
	s_cmp_lt_u32 s72, s62                                      // 0000000050D0: BF0A3E48
	s_cselect_b32 s21, s16, s52                                // 0000000050D4: 85153410
	s_mov_b64 exec, s[20:21]                                   // 0000000050D8: BEFE0114
	global_atomic_add_f32 v6, v57, s[8:9]                      // 0000000050DC: DD348000 00083906
	global_atomic_add_f32 v6, v61, s[8:9] offset:256           // 0000000050E4: DD348100 00083D06
	s_mov_b64 exec, s[16:17]                                   // 0000000050EC: BEFE0110
	v_mov_b32_e32 v6, v82                                      // 0000000050F0: 7E0C0352
	s_mov_b64 s[52:53], 0                                      // 0000000050F4: BEB40180
	v_readlane_b32 s72, v3, 4                                  // 0000000050F8: D2890048 00010903
	s_cmp_lt_u32 s72, s62                                      // 000000005100: BF0A3E48
	s_cselect_b32 s20, s16, s52                                // 000000005104: 85143410
	v_readlane_b32 s72, v3, 5                                  // 000000005108: D2890048 00010B03
	s_cmp_lt_u32 s72, s62                                      // 000000005110: BF0A3E48
	s_cselect_b32 s21, s16, s52                                // 000000005114: 85153410
	s_mov_b64 exec, s[20:21]                                   // 000000005118: BEFE0114
	global_atomic_add_f32 v6, v64, s[8:9]                      // 00000000511C: DD348000 00084006
	global_atomic_add_f32 v6, v68, s[8:9] offset:256           // 000000005124: DD348100 00084406
	s_mov_b64 exec, s[16:17]                                   // 00000000512C: BEFE0110
	v_mov_b32_e32 v6, v83                                      // 000000005130: 7E0C0353
	s_mov_b64 s[52:53], 0                                      // 000000005134: BEB40180
	v_readlane_b32 s72, v3, 6                                  // 000000005138: D2890048 00010D03
	s_cmp_lt_u32 s72, s62                                      // 000000005140: BF0A3E48
	s_cselect_b32 s20, s16, s52                                // 000000005144: 85143410
	v_readlane_b32 s72, v3, 7                                  // 000000005148: D2890048 00010F03
	s_cmp_lt_u32 s72, s62                                      // 000000005150: BF0A3E48
	s_cselect_b32 s21, s16, s52                                // 000000005154: 85153410
	s_mov_b64 exec, s[20:21]                                   // 000000005158: BEFE0114
	global_atomic_add_f32 v6, v65, s[8:9]                      // 00000000515C: DD348000 00084106
	global_atomic_add_f32 v6, v69, s[8:9] offset:256           // 000000005164: DD348100 00084506
	s_mov_b64 exec, s[16:17]                                   // 00000000516C: BEFE0110
	v_mov_b32_e32 v6, v84                                      // 000000005170: 7E0C0354
	s_mov_b64 s[52:53], 0                                      // 000000005174: BEB40180
	v_readlane_b32 s72, v3, 8                                  // 000000005178: D2890048 00011103
	s_cmp_lt_u32 s72, s62                                      // 000000005180: BF0A3E48
	s_cselect_b32 s20, s16, s52                                // 000000005184: 85143410
	v_readlane_b32 s72, v3, 9                                  // 000000005188: D2890048 00011303
	s_cmp_lt_u32 s72, s62                                      // 000000005190: BF0A3E48
	s_cselect_b32 s21, s16, s52                                // 000000005194: 85153410
	s_mov_b64 exec, s[20:21]                                   // 000000005198: BEFE0114
	global_atomic_add_f32 v6, v72, s[8:9]                      // 00000000519C: DD348000 00084806
	global_atomic_add_f32 v6, v76, s[8:9] offset:256           // 0000000051A4: DD348100 00084C06
	s_mov_b64 exec, s[16:17]                                   // 0000000051AC: BEFE0110
	v_mov_b32_e32 v6, v85                                      // 0000000051B0: 7E0C0355
	s_mov_b64 s[52:53], 0                                      // 0000000051B4: BEB40180
	v_readlane_b32 s72, v3, 10                                 // 0000000051B8: D2890048 00011503
	s_cmp_lt_u32 s72, s62                                      // 0000000051C0: BF0A3E48
	s_cselect_b32 s20, s16, s52                                // 0000000051C4: 85143410
	v_readlane_b32 s72, v3, 11                                 // 0000000051C8: D2890048 00011703
	s_cmp_lt_u32 s72, s62                                      // 0000000051D0: BF0A3E48
	s_cselect_b32 s21, s16, s52                                // 0000000051D4: 85153410
	s_mov_b64 exec, s[20:21]                                   // 0000000051D8: BEFE0114
	global_atomic_add_f32 v6, v73, s[8:9]                      // 0000000051DC: DD348000 00084906
	global_atomic_add_f32 v6, v77, s[8:9] offset:256           // 0000000051E4: DD348100 00084D06
	s_mov_b64 exec, s[16:17]                                   // 0000000051EC: BEFE0110
	v_mov_b32_e32 v6, v86                                      // 0000000051F0: 7E0C0356
	s_mov_b64 s[52:53], 0                                      // 0000000051F4: BEB40180
	v_readlane_b32 s72, v3, 12                                 // 0000000051F8: D2890048 00011903
	s_cmp_lt_u32 s72, s62                                      // 000000005200: BF0A3E48
	s_cselect_b32 s20, s16, s52                                // 000000005204: 85143410
	v_readlane_b32 s72, v3, 13                                 // 000000005208: D2890048 00011B03
	s_cmp_lt_u32 s72, s62                                      // 000000005210: BF0A3E48
	s_cselect_b32 s21, s16, s52                                // 000000005214: 85153410
	s_mov_b64 exec, s[20:21]                                   // 000000005218: BEFE0114
	global_atomic_add_f32 v6, v80, s[8:9]                      // 00000000521C: DD348000 00085006
	global_atomic_add_f32 v6, v84, s[8:9] offset:256           // 000000005224: DD348100 00085406
	s_mov_b64 exec, s[16:17]                                   // 00000000522C: BEFE0110
	v_mov_b32_e32 v6, v87                                      // 000000005230: 7E0C0357
	s_mov_b64 s[52:53], 0                                      // 000000005234: BEB40180
	v_readlane_b32 s72, v3, 14                                 // 000000005238: D2890048 00011D03
	s_cmp_lt_u32 s72, s62                                      // 000000005240: BF0A3E48
	s_cselect_b32 s20, s16, s52                                // 000000005244: 85143410
	v_readlane_b32 s72, v3, 15                                 // 000000005248: D2890048 00011F03
	s_cmp_lt_u32 s72, s62                                      // 000000005250: BF0A3E48
	s_cselect_b32 s21, s16, s52                                // 000000005254: 85153410
	s_mov_b64 exec, s[20:21]                                   // 000000005258: BEFE0114
	global_atomic_add_f32 v6, v81, s[8:9]                      // 00000000525C: DD348000 00085106
	global_atomic_add_f32 v6, v85, s[8:9] offset:256           // 000000005264: DD348100 00085506
	s_mov_b64 exec, s[16:17]                                   // 00000000526C: BEFE0110
	v_mov_b32_e32 v6, v88                                      // 000000005270: 7E0C0358
	s_mov_b64 s[52:53], 0                                      // 000000005274: BEB40180
	v_readlane_b32 s72, v3, 16                                 // 000000005278: D2890048 00012103
	s_cmp_lt_u32 s72, s62                                      // 000000005280: BF0A3E48
	s_cselect_b32 s20, s16, s52                                // 000000005284: 85143410
	v_readlane_b32 s72, v3, 17                                 // 000000005288: D2890048 00012303
	s_cmp_lt_u32 s72, s62                                      // 000000005290: BF0A3E48
	s_cselect_b32 s21, s16, s52                                // 000000005294: 85153410
	s_mov_b64 exec, s[20:21]                                   // 000000005298: BEFE0114
	global_atomic_add_f32 v6, v88, s[8:9]                      // 00000000529C: DD348000 00085806
	global_atomic_add_f32 v6, v92, s[8:9] offset:256           // 0000000052A4: DD348100 00085C06
	s_mov_b64 exec, s[16:17]                                   // 0000000052AC: BEFE0110
	v_mov_b32_e32 v6, v89                                      // 0000000052B0: 7E0C0359
	s_mov_b64 s[52:53], 0                                      // 0000000052B4: BEB40180
	v_readlane_b32 s72, v3, 18                                 // 0000000052B8: D2890048 00012503
	s_cmp_lt_u32 s72, s62                                      // 0000000052C0: BF0A3E48
	s_cselect_b32 s20, s16, s52                                // 0000000052C4: 85143410
	v_readlane_b32 s72, v3, 19                                 // 0000000052C8: D2890048 00012703
	s_cmp_lt_u32 s72, s62                                      // 0000000052D0: BF0A3E48
	s_cselect_b32 s21, s16, s52                                // 0000000052D4: 85153410
	s_mov_b64 exec, s[20:21]                                   // 0000000052D8: BEFE0114
	global_atomic_add_f32 v6, v89, s[8:9]                      // 0000000052DC: DD348000 00085906
	global_atomic_add_f32 v6, v93, s[8:9] offset:256           // 0000000052E4: DD348100 00085D06
	s_mov_b64 exec, s[16:17]                                   // 0000000052EC: BEFE0110
	v_mov_b32_e32 v6, v90                                      // 0000000052F0: 7E0C035A
	s_mov_b64 s[52:53], 0                                      // 0000000052F4: BEB40180
	v_readlane_b32 s72, v3, 20                                 // 0000000052F8: D2890048 00012903
	s_cmp_lt_u32 s72, s62                                      // 000000005300: BF0A3E48
	s_cselect_b32 s20, s16, s52                                // 000000005304: 85143410
	v_readlane_b32 s72, v3, 21                                 // 000000005308: D2890048 00012B03
	s_cmp_lt_u32 s72, s62                                      // 000000005310: BF0A3E48
	s_cselect_b32 s21, s16, s52                                // 000000005314: 85153410
	s_mov_b64 exec, s[20:21]                                   // 000000005318: BEFE0114
	global_atomic_add_f32 v6, v96, s[8:9]                      // 00000000531C: DD348000 00086006
	global_atomic_add_f32 v6, v100, s[8:9] offset:256          // 000000005324: DD348100 00086406
	s_mov_b64 exec, s[16:17]                                   // 00000000532C: BEFE0110
	v_mov_b32_e32 v6, v91                                      // 000000005330: 7E0C035B
	s_mov_b64 s[52:53], 0                                      // 000000005334: BEB40180
	v_readlane_b32 s72, v3, 22                                 // 000000005338: D2890048 00012D03
	s_cmp_lt_u32 s72, s62                                      // 000000005340: BF0A3E48
	s_cselect_b32 s20, s16, s52                                // 000000005344: 85143410
	v_readlane_b32 s72, v3, 23                                 // 000000005348: D2890048 00012F03
	s_cmp_lt_u32 s72, s62                                      // 000000005350: BF0A3E48
	s_cselect_b32 s21, s16, s52                                // 000000005354: 85153410
	s_mov_b64 exec, s[20:21]                                   // 000000005358: BEFE0114
	global_atomic_add_f32 v6, v97, s[8:9]                      // 00000000535C: DD348000 00086106
	global_atomic_add_f32 v6, v101, s[8:9] offset:256          // 000000005364: DD348100 00086506
	s_mov_b64 exec, s[16:17]                                   // 00000000536C: BEFE0110
	ds_write_b64 v16, v[58:59]                                 // 000000005370: D89A0000 00003A10
	ds_write_b64 v16, v[62:63] offset:4352                     // 000000005378: D89A1100 00003E10
	ds_write_b64 v16, v[66:67] offset:8704                     // 000000005380: D89A2200 00004210
	ds_write_b64 v16, v[70:71] offset:13056                    // 000000005388: D89A3300 00004610
	ds_write_b64 v16, v[74:75] offset:17408                    // 000000005390: D89A4400 00004A10
	ds_write_b64 v16, v[78:79] offset:21760                    // 000000005398: D89A5500 00004E10
	ds_write_b64 v16, v[82:83] offset:2176                     // 0000000053A0: D89A0880 00005210
	ds_write_b64 v16, v[86:87] offset:6528                     // 0000000053A8: D89A1980 00005610
	ds_write_b64 v16, v[90:91] offset:10880                    // 0000000053B0: D89A2A80 00005A10
	ds_write_b64 v16, v[94:95] offset:15232                    // 0000000053B8: D89A3B80 00005E10
	ds_write_b64 v16, v[98:99] offset:19584                    // 0000000053C0: D89A4C80 00006210
	ds_write_b64 v16, v[102:103] offset:23936                  // 0000000053C8: D89A5D80 00006610
	s_waitcnt lgkmcnt(0)                                       // 0000000053D0: BF8CC07F
	s_barrier                                                  // 0000000053D4: BF8A0000
	ds_read_b32 v58, v17                                       // 0000000053D8: D86C0000 3A000011
	ds_read_b32 v59, v17 offset:64                             // 0000000053E0: D86C0040 3B000011
	ds_read_b32 v62, v17 offset:2176                           // 0000000053E8: D86C0880 3E000011
	ds_read_b32 v63, v17 offset:2240                           // 0000000053F0: D86C08C0 3F000011
	ds_read_b32 v66, v17 offset:4352                           // 0000000053F8: D86C1100 42000011
	ds_read_b32 v67, v17 offset:4416                           // 000000005400: D86C1140 43000011
	ds_read_b32 v70, v17 offset:6528                           // 000000005408: D86C1980 46000011
	ds_read_b32 v71, v17 offset:6592                           // 000000005410: D86C19C0 47000011
	ds_read_b32 v74, v17 offset:8704                           // 000000005418: D86C2200 4A000011
	ds_read_b32 v75, v17 offset:8768                           // 000000005420: D86C2240 4B000011
	ds_read_b32 v78, v17 offset:10880                          // 000000005428: D86C2A80 4E000011
	ds_read_b32 v79, v17 offset:10944                          // 000000005430: D86C2AC0 4F000011
	ds_read_b32 v82, v17 offset:13056                          // 000000005438: D86C3300 52000011
	ds_read_b32 v83, v17 offset:13120                          // 000000005440: D86C3340 53000011
	ds_read_b32 v86, v17 offset:15232                          // 000000005448: D86C3B80 56000011
	ds_read_b32 v87, v17 offset:15296                          // 000000005450: D86C3BC0 57000011
	ds_read_b32 v90, v17 offset:17408                          // 000000005458: D86C4400 5A000011
	ds_read_b32 v91, v17 offset:17472                          // 000000005460: D86C4440 5B000011
	ds_read_b32 v94, v17 offset:19584                          // 000000005468: D86C4C80 5E000011
	ds_read_b32 v95, v17 offset:19648                          // 000000005470: D86C4CC0 5F000011
	ds_read_b32 v98, v17 offset:21760                          // 000000005478: D86C5500 62000011
	ds_read_b32 v99, v17 offset:21824                          // 000000005480: D86C5540 63000011
	ds_read_b32 v102, v17 offset:23936                         // 000000005488: D86C5D80 66000011
	ds_read_b32 v103, v17 offset:24000                         // 000000005490: D86C5DC0 67000011
	s_waitcnt lgkmcnt(0)                                       // 000000005498: BF8CC07F
	v_mov_b32_e32 v7, 0                                        // 00000000549C: 7E0E0280
	s_mov_b64 exec, s[16:17]                                   // 0000000054A0: BEFE0110
	v_mov_b32_e32 v6, v80                                      // 0000000054A4: 7E0C0350
	s_mov_b64 s[52:53], 0                                      // 0000000054A8: BEB40180
	v_readlane_b32 s72, v3, 0                                  // 0000000054AC: D2890048 00010103
	s_cmp_lt_u32 s72, s62                                      // 0000000054B4: BF0A3E48
	s_cselect_b32 s20, s16, s52                                // 0000000054B8: 85143410
	v_readlane_b32 s72, v3, 1                                  // 0000000054BC: D2890048 00010303
	s_cmp_lt_u32 s72, s62                                      // 0000000054C4: BF0A3E48
	s_cselect_b32 s21, s16, s52                                // 0000000054C8: 85153410
	s_mov_b64 exec, s[20:21]                                   // 0000000054CC: BEFE0114
	global_atomic_add_f32 v6, v58, s[8:9] offset:8             // 0000000054D0: DD348008 00083A06
	global_atomic_add_f32 v6, v62, s[8:9] offset:264           // 0000000054D8: DD348108 00083E06
	s_mov_b64 exec, s[16:17]                                   // 0000000054E0: BEFE0110
	v_mov_b32_e32 v6, v81                                      // 0000000054E4: 7E0C0351
	s_mov_b64 s[52:53], 0                                      // 0000000054E8: BEB40180
	v_readlane_b32 s72, v3, 2                                  // 0000000054EC: D2890048 00010503
	s_cmp_lt_u32 s72, s62                                      // 0000000054F4: BF0A3E48
	s_cselect_b32 s20, s16, s52                                // 0000000054F8: 85143410
	v_readlane_b32 s72, v3, 3                                  // 0000000054FC: D2890048 00010703
	s_cmp_lt_u32 s72, s62                                      // 000000005504: BF0A3E48
	s_cselect_b32 s21, s16, s52                                // 000000005508: 85153410
	s_mov_b64 exec, s[20:21]                                   // 00000000550C: BEFE0114
	global_atomic_add_f32 v6, v59, s[8:9] offset:8             // 000000005510: DD348008 00083B06
	global_atomic_add_f32 v6, v63, s[8:9] offset:264           // 000000005518: DD348108 00083F06
	s_mov_b64 exec, s[16:17]                                   // 000000005520: BEFE0110
	v_mov_b32_e32 v6, v82                                      // 000000005524: 7E0C0352
	s_mov_b64 s[52:53], 0                                      // 000000005528: BEB40180
	v_readlane_b32 s72, v3, 4                                  // 00000000552C: D2890048 00010903
	s_cmp_lt_u32 s72, s62                                      // 000000005534: BF0A3E48
	s_cselect_b32 s20, s16, s52                                // 000000005538: 85143410
	v_readlane_b32 s72, v3, 5                                  // 00000000553C: D2890048 00010B03
	s_cmp_lt_u32 s72, s62                                      // 000000005544: BF0A3E48
	s_cselect_b32 s21, s16, s52                                // 000000005548: 85153410
	s_mov_b64 exec, s[20:21]                                   // 00000000554C: BEFE0114
	global_atomic_add_f32 v6, v66, s[8:9] offset:8             // 000000005550: DD348008 00084206
	global_atomic_add_f32 v6, v70, s[8:9] offset:264           // 000000005558: DD348108 00084606
	s_mov_b64 exec, s[16:17]                                   // 000000005560: BEFE0110
	v_mov_b32_e32 v6, v83                                      // 000000005564: 7E0C0353
	s_mov_b64 s[52:53], 0                                      // 000000005568: BEB40180
	v_readlane_b32 s72, v3, 6                                  // 00000000556C: D2890048 00010D03
	s_cmp_lt_u32 s72, s62                                      // 000000005574: BF0A3E48
	s_cselect_b32 s20, s16, s52                                // 000000005578: 85143410
	v_readlane_b32 s72, v3, 7                                  // 00000000557C: D2890048 00010F03
	s_cmp_lt_u32 s72, s62                                      // 000000005584: BF0A3E48
	s_cselect_b32 s21, s16, s52                                // 000000005588: 85153410
	s_mov_b64 exec, s[20:21]                                   // 00000000558C: BEFE0114
	global_atomic_add_f32 v6, v67, s[8:9] offset:8             // 000000005590: DD348008 00084306
	global_atomic_add_f32 v6, v71, s[8:9] offset:264           // 000000005598: DD348108 00084706
	s_mov_b64 exec, s[16:17]                                   // 0000000055A0: BEFE0110
	v_mov_b32_e32 v6, v84                                      // 0000000055A4: 7E0C0354
	s_mov_b64 s[52:53], 0                                      // 0000000055A8: BEB40180
	v_readlane_b32 s72, v3, 8                                  // 0000000055AC: D2890048 00011103
	s_cmp_lt_u32 s72, s62                                      // 0000000055B4: BF0A3E48
	s_cselect_b32 s20, s16, s52                                // 0000000055B8: 85143410
	v_readlane_b32 s72, v3, 9                                  // 0000000055BC: D2890048 00011303
	s_cmp_lt_u32 s72, s62                                      // 0000000055C4: BF0A3E48
	s_cselect_b32 s21, s16, s52                                // 0000000055C8: 85153410
	s_mov_b64 exec, s[20:21]                                   // 0000000055CC: BEFE0114
	global_atomic_add_f32 v6, v74, s[8:9] offset:8             // 0000000055D0: DD348008 00084A06
	global_atomic_add_f32 v6, v78, s[8:9] offset:264           // 0000000055D8: DD348108 00084E06
	s_mov_b64 exec, s[16:17]                                   // 0000000055E0: BEFE0110
	v_mov_b32_e32 v6, v85                                      // 0000000055E4: 7E0C0355
	s_mov_b64 s[52:53], 0                                      // 0000000055E8: BEB40180
	v_readlane_b32 s72, v3, 10                                 // 0000000055EC: D2890048 00011503
	s_cmp_lt_u32 s72, s62                                      // 0000000055F4: BF0A3E48
	s_cselect_b32 s20, s16, s52                                // 0000000055F8: 85143410
	v_readlane_b32 s72, v3, 11                                 // 0000000055FC: D2890048 00011703
	s_cmp_lt_u32 s72, s62                                      // 000000005604: BF0A3E48
	s_cselect_b32 s21, s16, s52                                // 000000005608: 85153410
	s_mov_b64 exec, s[20:21]                                   // 00000000560C: BEFE0114
	global_atomic_add_f32 v6, v75, s[8:9] offset:8             // 000000005610: DD348008 00084B06
	global_atomic_add_f32 v6, v79, s[8:9] offset:264           // 000000005618: DD348108 00084F06
	s_mov_b64 exec, s[16:17]                                   // 000000005620: BEFE0110
	v_mov_b32_e32 v6, v86                                      // 000000005624: 7E0C0356
	s_mov_b64 s[52:53], 0                                      // 000000005628: BEB40180
	v_readlane_b32 s72, v3, 12                                 // 00000000562C: D2890048 00011903
	s_cmp_lt_u32 s72, s62                                      // 000000005634: BF0A3E48
	s_cselect_b32 s20, s16, s52                                // 000000005638: 85143410
	v_readlane_b32 s72, v3, 13                                 // 00000000563C: D2890048 00011B03
	s_cmp_lt_u32 s72, s62                                      // 000000005644: BF0A3E48
	s_cselect_b32 s21, s16, s52                                // 000000005648: 85153410
	s_mov_b64 exec, s[20:21]                                   // 00000000564C: BEFE0114
	global_atomic_add_f32 v6, v82, s[8:9] offset:8             // 000000005650: DD348008 00085206
	global_atomic_add_f32 v6, v86, s[8:9] offset:264           // 000000005658: DD348108 00085606
	s_mov_b64 exec, s[16:17]                                   // 000000005660: BEFE0110
	v_mov_b32_e32 v6, v87                                      // 000000005664: 7E0C0357
	s_mov_b64 s[52:53], 0                                      // 000000005668: BEB40180
	v_readlane_b32 s72, v3, 14                                 // 00000000566C: D2890048 00011D03
	s_cmp_lt_u32 s72, s62                                      // 000000005674: BF0A3E48
	s_cselect_b32 s20, s16, s52                                // 000000005678: 85143410
	v_readlane_b32 s72, v3, 15                                 // 00000000567C: D2890048 00011F03
	s_cmp_lt_u32 s72, s62                                      // 000000005684: BF0A3E48
	s_cselect_b32 s21, s16, s52                                // 000000005688: 85153410
	s_mov_b64 exec, s[20:21]                                   // 00000000568C: BEFE0114
	global_atomic_add_f32 v6, v83, s[8:9] offset:8             // 000000005690: DD348008 00085306
	global_atomic_add_f32 v6, v87, s[8:9] offset:264           // 000000005698: DD348108 00085706
	s_mov_b64 exec, s[16:17]                                   // 0000000056A0: BEFE0110
	v_mov_b32_e32 v6, v88                                      // 0000000056A4: 7E0C0358
	s_mov_b64 s[52:53], 0                                      // 0000000056A8: BEB40180
	v_readlane_b32 s72, v3, 16                                 // 0000000056AC: D2890048 00012103
	s_cmp_lt_u32 s72, s62                                      // 0000000056B4: BF0A3E48
	s_cselect_b32 s20, s16, s52                                // 0000000056B8: 85143410
	v_readlane_b32 s72, v3, 17                                 // 0000000056BC: D2890048 00012303
	s_cmp_lt_u32 s72, s62                                      // 0000000056C4: BF0A3E48
	s_cselect_b32 s21, s16, s52                                // 0000000056C8: 85153410
	s_mov_b64 exec, s[20:21]                                   // 0000000056CC: BEFE0114
	global_atomic_add_f32 v6, v90, s[8:9] offset:8             // 0000000056D0: DD348008 00085A06
	global_atomic_add_f32 v6, v94, s[8:9] offset:264           // 0000000056D8: DD348108 00085E06
	s_mov_b64 exec, s[16:17]                                   // 0000000056E0: BEFE0110
	v_mov_b32_e32 v6, v89                                      // 0000000056E4: 7E0C0359
	s_mov_b64 s[52:53], 0                                      // 0000000056E8: BEB40180
	v_readlane_b32 s72, v3, 18                                 // 0000000056EC: D2890048 00012503
	s_cmp_lt_u32 s72, s62                                      // 0000000056F4: BF0A3E48
	s_cselect_b32 s20, s16, s52                                // 0000000056F8: 85143410
	v_readlane_b32 s72, v3, 19                                 // 0000000056FC: D2890048 00012703
	s_cmp_lt_u32 s72, s62                                      // 000000005704: BF0A3E48
	s_cselect_b32 s21, s16, s52                                // 000000005708: 85153410
	s_mov_b64 exec, s[20:21]                                   // 00000000570C: BEFE0114
	global_atomic_add_f32 v6, v91, s[8:9] offset:8             // 000000005710: DD348008 00085B06
	global_atomic_add_f32 v6, v95, s[8:9] offset:264           // 000000005718: DD348108 00085F06
	s_mov_b64 exec, s[16:17]                                   // 000000005720: BEFE0110
	v_mov_b32_e32 v6, v90                                      // 000000005724: 7E0C035A
	s_mov_b64 s[52:53], 0                                      // 000000005728: BEB40180
	v_readlane_b32 s72, v3, 20                                 // 00000000572C: D2890048 00012903
	s_cmp_lt_u32 s72, s62                                      // 000000005734: BF0A3E48
	s_cselect_b32 s20, s16, s52                                // 000000005738: 85143410
	v_readlane_b32 s72, v3, 21                                 // 00000000573C: D2890048 00012B03
	s_cmp_lt_u32 s72, s62                                      // 000000005744: BF0A3E48
	s_cselect_b32 s21, s16, s52                                // 000000005748: 85153410
	s_mov_b64 exec, s[20:21]                                   // 00000000574C: BEFE0114
	global_atomic_add_f32 v6, v98, s[8:9] offset:8             // 000000005750: DD348008 00086206
	global_atomic_add_f32 v6, v102, s[8:9] offset:264          // 000000005758: DD348108 00086606
	s_mov_b64 exec, s[16:17]                                   // 000000005760: BEFE0110
	v_mov_b32_e32 v6, v91                                      // 000000005764: 7E0C035B
	s_mov_b64 s[52:53], 0                                      // 000000005768: BEB40180
	v_readlane_b32 s72, v3, 22                                 // 00000000576C: D2890048 00012D03
	s_cmp_lt_u32 s72, s62                                      // 000000005774: BF0A3E48
	s_cselect_b32 s20, s16, s52                                // 000000005778: 85143410
	v_readlane_b32 s72, v3, 23                                 // 00000000577C: D2890048 00012F03
	s_cmp_lt_u32 s72, s62                                      // 000000005784: BF0A3E48
	s_cselect_b32 s21, s16, s52                                // 000000005788: 85153410
	s_mov_b64 exec, s[20:21]                                   // 00000000578C: BEFE0114
	global_atomic_add_f32 v6, v99, s[8:9] offset:8             // 000000005790: DD348008 00086306
	global_atomic_add_f32 v6, v103, s[8:9] offset:264          // 000000005798: DD348108 00086706
	s_mov_b64 exec, s[16:17]                                   // 0000000057A0: BEFE0110
	ds_write_b64 v16, v[104:105]                               // 0000000057A4: D89A0000 00006810
	ds_write_b64 v16, v[108:109] offset:4352                   // 0000000057AC: D89A1100 00006C10
	ds_write_b64 v16, v[112:113] offset:8704                   // 0000000057B4: D89A2200 00007010
	ds_write_b64 v16, v[116:117] offset:13056                  // 0000000057BC: D89A3300 00007410
	ds_write_b64 v16, v[120:121] offset:17408                  // 0000000057C4: D89A4400 00007810
	ds_write_b64 v16, v[124:125] offset:21760                  // 0000000057CC: D89A5500 00007C10
	ds_write_b64 v16, v[128:129] offset:2176                   // 0000000057D4: D89A0880 00008010
	ds_write_b64 v16, v[132:133] offset:6528                   // 0000000057DC: D89A1980 00008410
	ds_write_b64 v16, v[136:137] offset:10880                  // 0000000057E4: D89A2A80 00008810
	ds_write_b64 v16, v[140:141] offset:15232                  // 0000000057EC: D89A3B80 00008C10
	ds_write_b64 v16, v[144:145] offset:19584                  // 0000000057F4: D89A4C80 00009010
	ds_write_b64 v16, v[148:149] offset:23936                  // 0000000057FC: D89A5D80 00009410
	s_waitcnt lgkmcnt(0)                                       // 000000005804: BF8CC07F
	s_barrier                                                  // 000000005808: BF8A0000
	ds_read_b32 v104, v17                                      // 00000000580C: D86C0000 68000011
	ds_read_b32 v105, v17 offset:64                            // 000000005814: D86C0040 69000011
	ds_read_b32 v108, v17 offset:2176                          // 00000000581C: D86C0880 6C000011
	ds_read_b32 v109, v17 offset:2240                          // 000000005824: D86C08C0 6D000011
	ds_read_b32 v112, v17 offset:4352                          // 00000000582C: D86C1100 70000011
	ds_read_b32 v113, v17 offset:4416                          // 000000005834: D86C1140 71000011
	ds_read_b32 v116, v17 offset:6528                          // 00000000583C: D86C1980 74000011
	ds_read_b32 v117, v17 offset:6592                          // 000000005844: D86C19C0 75000011
	ds_read_b32 v120, v17 offset:8704                          // 00000000584C: D86C2200 78000011
	ds_read_b32 v121, v17 offset:8768                          // 000000005854: D86C2240 79000011
	ds_read_b32 v124, v17 offset:10880                         // 00000000585C: D86C2A80 7C000011
	ds_read_b32 v125, v17 offset:10944                         // 000000005864: D86C2AC0 7D000011
	ds_read_b32 v128, v17 offset:13056                         // 00000000586C: D86C3300 80000011
	ds_read_b32 v129, v17 offset:13120                         // 000000005874: D86C3340 81000011
	ds_read_b32 v132, v17 offset:15232                         // 00000000587C: D86C3B80 84000011
	ds_read_b32 v133, v17 offset:15296                         // 000000005884: D86C3BC0 85000011
	ds_read_b32 v136, v17 offset:17408                         // 00000000588C: D86C4400 88000011
	ds_read_b32 v137, v17 offset:17472                         // 000000005894: D86C4440 89000011
	ds_read_b32 v140, v17 offset:19584                         // 00000000589C: D86C4C80 8C000011
	ds_read_b32 v141, v17 offset:19648                         // 0000000058A4: D86C4CC0 8D000011
	ds_read_b32 v144, v17 offset:21760                         // 0000000058AC: D86C5500 90000011
	ds_read_b32 v145, v17 offset:21824                         // 0000000058B4: D86C5540 91000011
	ds_read_b32 v148, v17 offset:23936                         // 0000000058BC: D86C5D80 94000011
	ds_read_b32 v149, v17 offset:24000                         // 0000000058C4: D86C5DC0 95000011
	s_mul_i32 s52, s61, 4                                      // 0000000058CC: 9234843D
	s_add_u32 s8, s52, s8                                      // 0000000058D0: 80080834
	s_addc_u32 s9, 0, s9                                       // 0000000058D4: 82090980
	s_waitcnt lgkmcnt(0)                                       // 0000000058D8: BF8CC07F
	v_mov_b32_e32 v7, 0                                        // 0000000058DC: 7E0E0280
	s_mov_b64 exec, s[16:17]                                   // 0000000058E0: BEFE0110
	v_mov_b32_e32 v6, v80                                      // 0000000058E4: 7E0C0350
	s_mov_b64 s[52:53], 0                                      // 0000000058E8: BEB40180
	v_readlane_b32 s72, v3, 0                                  // 0000000058EC: D2890048 00010103
	s_cmp_lt_u32 s72, s62                                      // 0000000058F4: BF0A3E48
	s_cselect_b32 s20, s16, s52                                // 0000000058F8: 85143410
	v_readlane_b32 s72, v3, 1                                  // 0000000058FC: D2890048 00010303
	s_cmp_lt_u32 s72, s62                                      // 000000005904: BF0A3E48
	s_cselect_b32 s21, s16, s52                                // 000000005908: 85153410
	s_mov_b64 exec, s[20:21]                                   // 00000000590C: BEFE0114
	global_atomic_add_f32 v6, v104, s[8:9]                     // 000000005910: DD348000 00086806
	global_atomic_add_f32 v6, v108, s[8:9] offset:256          // 000000005918: DD348100 00086C06
	s_mov_b64 exec, s[16:17]                                   // 000000005920: BEFE0110
	v_mov_b32_e32 v6, v81                                      // 000000005924: 7E0C0351
	s_mov_b64 s[52:53], 0                                      // 000000005928: BEB40180
	v_readlane_b32 s72, v3, 2                                  // 00000000592C: D2890048 00010503
	s_cmp_lt_u32 s72, s62                                      // 000000005934: BF0A3E48
	s_cselect_b32 s20, s16, s52                                // 000000005938: 85143410
	v_readlane_b32 s72, v3, 3                                  // 00000000593C: D2890048 00010703
	s_cmp_lt_u32 s72, s62                                      // 000000005944: BF0A3E48
	s_cselect_b32 s21, s16, s52                                // 000000005948: 85153410
	s_mov_b64 exec, s[20:21]                                   // 00000000594C: BEFE0114
	global_atomic_add_f32 v6, v105, s[8:9]                     // 000000005950: DD348000 00086906
	global_atomic_add_f32 v6, v109, s[8:9] offset:256          // 000000005958: DD348100 00086D06
	s_mov_b64 exec, s[16:17]                                   // 000000005960: BEFE0110
	v_mov_b32_e32 v6, v82                                      // 000000005964: 7E0C0352
	s_mov_b64 s[52:53], 0                                      // 000000005968: BEB40180
	v_readlane_b32 s72, v3, 4                                  // 00000000596C: D2890048 00010903
	s_cmp_lt_u32 s72, s62                                      // 000000005974: BF0A3E48
	s_cselect_b32 s20, s16, s52                                // 000000005978: 85143410
	v_readlane_b32 s72, v3, 5                                  // 00000000597C: D2890048 00010B03
	s_cmp_lt_u32 s72, s62                                      // 000000005984: BF0A3E48
	s_cselect_b32 s21, s16, s52                                // 000000005988: 85153410
	s_mov_b64 exec, s[20:21]                                   // 00000000598C: BEFE0114
	global_atomic_add_f32 v6, v112, s[8:9]                     // 000000005990: DD348000 00087006
	global_atomic_add_f32 v6, v116, s[8:9] offset:256          // 000000005998: DD348100 00087406
	s_mov_b64 exec, s[16:17]                                   // 0000000059A0: BEFE0110
	v_mov_b32_e32 v6, v83                                      // 0000000059A4: 7E0C0353
	s_mov_b64 s[52:53], 0                                      // 0000000059A8: BEB40180
	v_readlane_b32 s72, v3, 6                                  // 0000000059AC: D2890048 00010D03
	s_cmp_lt_u32 s72, s62                                      // 0000000059B4: BF0A3E48
	s_cselect_b32 s20, s16, s52                                // 0000000059B8: 85143410
	v_readlane_b32 s72, v3, 7                                  // 0000000059BC: D2890048 00010F03
	s_cmp_lt_u32 s72, s62                                      // 0000000059C4: BF0A3E48
	s_cselect_b32 s21, s16, s52                                // 0000000059C8: 85153410
	s_mov_b64 exec, s[20:21]                                   // 0000000059CC: BEFE0114
	global_atomic_add_f32 v6, v113, s[8:9]                     // 0000000059D0: DD348000 00087106
	global_atomic_add_f32 v6, v117, s[8:9] offset:256          // 0000000059D8: DD348100 00087506
	s_mov_b64 exec, s[16:17]                                   // 0000000059E0: BEFE0110
	v_mov_b32_e32 v6, v84                                      // 0000000059E4: 7E0C0354
	s_mov_b64 s[52:53], 0                                      // 0000000059E8: BEB40180
	v_readlane_b32 s72, v3, 8                                  // 0000000059EC: D2890048 00011103
	s_cmp_lt_u32 s72, s62                                      // 0000000059F4: BF0A3E48
	s_cselect_b32 s20, s16, s52                                // 0000000059F8: 85143410
	v_readlane_b32 s72, v3, 9                                  // 0000000059FC: D2890048 00011303
	s_cmp_lt_u32 s72, s62                                      // 000000005A04: BF0A3E48
	s_cselect_b32 s21, s16, s52                                // 000000005A08: 85153410
	s_mov_b64 exec, s[20:21]                                   // 000000005A0C: BEFE0114
	global_atomic_add_f32 v6, v120, s[8:9]                     // 000000005A10: DD348000 00087806
	global_atomic_add_f32 v6, v124, s[8:9] offset:256          // 000000005A18: DD348100 00087C06
	s_mov_b64 exec, s[16:17]                                   // 000000005A20: BEFE0110
	v_mov_b32_e32 v6, v85                                      // 000000005A24: 7E0C0355
	s_mov_b64 s[52:53], 0                                      // 000000005A28: BEB40180
	v_readlane_b32 s72, v3, 10                                 // 000000005A2C: D2890048 00011503
	s_cmp_lt_u32 s72, s62                                      // 000000005A34: BF0A3E48
	s_cselect_b32 s20, s16, s52                                // 000000005A38: 85143410
	v_readlane_b32 s72, v3, 11                                 // 000000005A3C: D2890048 00011703
	s_cmp_lt_u32 s72, s62                                      // 000000005A44: BF0A3E48
	s_cselect_b32 s21, s16, s52                                // 000000005A48: 85153410
	s_mov_b64 exec, s[20:21]                                   // 000000005A4C: BEFE0114
	global_atomic_add_f32 v6, v121, s[8:9]                     // 000000005A50: DD348000 00087906
	global_atomic_add_f32 v6, v125, s[8:9] offset:256          // 000000005A58: DD348100 00087D06
	s_mov_b64 exec, s[16:17]                                   // 000000005A60: BEFE0110
	v_mov_b32_e32 v6, v86                                      // 000000005A64: 7E0C0356
	s_mov_b64 s[52:53], 0                                      // 000000005A68: BEB40180
	v_readlane_b32 s72, v3, 12                                 // 000000005A6C: D2890048 00011903
	s_cmp_lt_u32 s72, s62                                      // 000000005A74: BF0A3E48
	s_cselect_b32 s20, s16, s52                                // 000000005A78: 85143410
	v_readlane_b32 s72, v3, 13                                 // 000000005A7C: D2890048 00011B03
	s_cmp_lt_u32 s72, s62                                      // 000000005A84: BF0A3E48
	s_cselect_b32 s21, s16, s52                                // 000000005A88: 85153410
	s_mov_b64 exec, s[20:21]                                   // 000000005A8C: BEFE0114
	global_atomic_add_f32 v6, v128, s[8:9]                     // 000000005A90: DD348000 00088006
	global_atomic_add_f32 v6, v132, s[8:9] offset:256          // 000000005A98: DD348100 00088406
	s_mov_b64 exec, s[16:17]                                   // 000000005AA0: BEFE0110
	v_mov_b32_e32 v6, v87                                      // 000000005AA4: 7E0C0357
	s_mov_b64 s[52:53], 0                                      // 000000005AA8: BEB40180
	v_readlane_b32 s72, v3, 14                                 // 000000005AAC: D2890048 00011D03
	s_cmp_lt_u32 s72, s62                                      // 000000005AB4: BF0A3E48
	s_cselect_b32 s20, s16, s52                                // 000000005AB8: 85143410
	v_readlane_b32 s72, v3, 15                                 // 000000005ABC: D2890048 00011F03
	s_cmp_lt_u32 s72, s62                                      // 000000005AC4: BF0A3E48
	s_cselect_b32 s21, s16, s52                                // 000000005AC8: 85153410
	s_mov_b64 exec, s[20:21]                                   // 000000005ACC: BEFE0114
	global_atomic_add_f32 v6, v129, s[8:9]                     // 000000005AD0: DD348000 00088106
	global_atomic_add_f32 v6, v133, s[8:9] offset:256          // 000000005AD8: DD348100 00088506
	s_mov_b64 exec, s[16:17]                                   // 000000005AE0: BEFE0110
	v_mov_b32_e32 v6, v88                                      // 000000005AE4: 7E0C0358
	s_mov_b64 s[52:53], 0                                      // 000000005AE8: BEB40180
	v_readlane_b32 s72, v3, 16                                 // 000000005AEC: D2890048 00012103
	s_cmp_lt_u32 s72, s62                                      // 000000005AF4: BF0A3E48
	s_cselect_b32 s20, s16, s52                                // 000000005AF8: 85143410
	v_readlane_b32 s72, v3, 17                                 // 000000005AFC: D2890048 00012303
	s_cmp_lt_u32 s72, s62                                      // 000000005B04: BF0A3E48
	s_cselect_b32 s21, s16, s52                                // 000000005B08: 85153410
	s_mov_b64 exec, s[20:21]                                   // 000000005B0C: BEFE0114
	global_atomic_add_f32 v6, v136, s[8:9]                     // 000000005B10: DD348000 00088806
	global_atomic_add_f32 v6, v140, s[8:9] offset:256          // 000000005B18: DD348100 00088C06
	s_mov_b64 exec, s[16:17]                                   // 000000005B20: BEFE0110
	v_mov_b32_e32 v6, v89                                      // 000000005B24: 7E0C0359
	s_mov_b64 s[52:53], 0                                      // 000000005B28: BEB40180
	v_readlane_b32 s72, v3, 18                                 // 000000005B2C: D2890048 00012503
	s_cmp_lt_u32 s72, s62                                      // 000000005B34: BF0A3E48
	s_cselect_b32 s20, s16, s52                                // 000000005B38: 85143410
	v_readlane_b32 s72, v3, 19                                 // 000000005B3C: D2890048 00012703
	s_cmp_lt_u32 s72, s62                                      // 000000005B44: BF0A3E48
	s_cselect_b32 s21, s16, s52                                // 000000005B48: 85153410
	s_mov_b64 exec, s[20:21]                                   // 000000005B4C: BEFE0114
	global_atomic_add_f32 v6, v137, s[8:9]                     // 000000005B50: DD348000 00088906
	global_atomic_add_f32 v6, v141, s[8:9] offset:256          // 000000005B58: DD348100 00088D06
	s_mov_b64 exec, s[16:17]                                   // 000000005B60: BEFE0110
	v_mov_b32_e32 v6, v90                                      // 000000005B64: 7E0C035A
	s_mov_b64 s[52:53], 0                                      // 000000005B68: BEB40180
	v_readlane_b32 s72, v3, 20                                 // 000000005B6C: D2890048 00012903
	s_cmp_lt_u32 s72, s62                                      // 000000005B74: BF0A3E48
	s_cselect_b32 s20, s16, s52                                // 000000005B78: 85143410
	v_readlane_b32 s72, v3, 21                                 // 000000005B7C: D2890048 00012B03
	s_cmp_lt_u32 s72, s62                                      // 000000005B84: BF0A3E48
	s_cselect_b32 s21, s16, s52                                // 000000005B88: 85153410
	s_mov_b64 exec, s[20:21]                                   // 000000005B8C: BEFE0114
	global_atomic_add_f32 v6, v144, s[8:9]                     // 000000005B90: DD348000 00089006
	global_atomic_add_f32 v6, v148, s[8:9] offset:256          // 000000005B98: DD348100 00089406
	s_mov_b64 exec, s[16:17]                                   // 000000005BA0: BEFE0110
	v_mov_b32_e32 v6, v91                                      // 000000005BA4: 7E0C035B
	s_mov_b64 s[52:53], 0                                      // 000000005BA8: BEB40180
	v_readlane_b32 s72, v3, 22                                 // 000000005BAC: D2890048 00012D03
	s_cmp_lt_u32 s72, s62                                      // 000000005BB4: BF0A3E48
	s_cselect_b32 s20, s16, s52                                // 000000005BB8: 85143410
	v_readlane_b32 s72, v3, 23                                 // 000000005BBC: D2890048 00012F03
	s_cmp_lt_u32 s72, s62                                      // 000000005BC4: BF0A3E48
	s_cselect_b32 s21, s16, s52                                // 000000005BC8: 85153410
	s_mov_b64 exec, s[20:21]                                   // 000000005BCC: BEFE0114
	global_atomic_add_f32 v6, v145, s[8:9]                     // 000000005BD0: DD348000 00089106
	global_atomic_add_f32 v6, v149, s[8:9] offset:256          // 000000005BD8: DD348100 00089506
	s_mov_b64 exec, s[16:17]                                   // 000000005BE0: BEFE0110
	ds_write_b64 v16, v[106:107]                               // 000000005BE4: D89A0000 00006A10
	ds_write_b64 v16, v[110:111] offset:4352                   // 000000005BEC: D89A1100 00006E10
	ds_write_b64 v16, v[114:115] offset:8704                   // 000000005BF4: D89A2200 00007210
	ds_write_b64 v16, v[118:119] offset:13056                  // 000000005BFC: D89A3300 00007610
	ds_write_b64 v16, v[122:123] offset:17408                  // 000000005C04: D89A4400 00007A10
	ds_write_b64 v16, v[126:127] offset:21760                  // 000000005C0C: D89A5500 00007E10
	ds_write_b64 v16, v[130:131] offset:2176                   // 000000005C14: D89A0880 00008210
	ds_write_b64 v16, v[134:135] offset:6528                   // 000000005C1C: D89A1980 00008610
	ds_write_b64 v16, v[138:139] offset:10880                  // 000000005C24: D89A2A80 00008A10
	ds_write_b64 v16, v[142:143] offset:15232                  // 000000005C2C: D89A3B80 00008E10
	ds_write_b64 v16, v[146:147] offset:19584                  // 000000005C34: D89A4C80 00009210
	ds_write_b64 v16, v[150:151] offset:23936                  // 000000005C3C: D89A5D80 00009610
	s_waitcnt lgkmcnt(0)                                       // 000000005C44: BF8CC07F
	s_barrier                                                  // 000000005C48: BF8A0000
	ds_read_b32 v106, v17                                      // 000000005C4C: D86C0000 6A000011
	ds_read_b32 v107, v17 offset:64                            // 000000005C54: D86C0040 6B000011
	ds_read_b32 v110, v17 offset:2176                          // 000000005C5C: D86C0880 6E000011
	ds_read_b32 v111, v17 offset:2240                          // 000000005C64: D86C08C0 6F000011
	ds_read_b32 v114, v17 offset:4352                          // 000000005C6C: D86C1100 72000011
	ds_read_b32 v115, v17 offset:4416                          // 000000005C74: D86C1140 73000011
	ds_read_b32 v118, v17 offset:6528                          // 000000005C7C: D86C1980 76000011
	ds_read_b32 v119, v17 offset:6592                          // 000000005C84: D86C19C0 77000011
	ds_read_b32 v122, v17 offset:8704                          // 000000005C8C: D86C2200 7A000011
	ds_read_b32 v123, v17 offset:8768                          // 000000005C94: D86C2240 7B000011
	ds_read_b32 v126, v17 offset:10880                         // 000000005C9C: D86C2A80 7E000011
	ds_read_b32 v127, v17 offset:10944                         // 000000005CA4: D86C2AC0 7F000011
	ds_read_b32 v130, v17 offset:13056                         // 000000005CAC: D86C3300 82000011
	ds_read_b32 v131, v17 offset:13120                         // 000000005CB4: D86C3340 83000011
	ds_read_b32 v134, v17 offset:15232                         // 000000005CBC: D86C3B80 86000011
	ds_read_b32 v135, v17 offset:15296                         // 000000005CC4: D86C3BC0 87000011
	ds_read_b32 v138, v17 offset:17408                         // 000000005CCC: D86C4400 8A000011
	ds_read_b32 v139, v17 offset:17472                         // 000000005CD4: D86C4440 8B000011
	ds_read_b32 v142, v17 offset:19584                         // 000000005CDC: D86C4C80 8E000011
	ds_read_b32 v143, v17 offset:19648                         // 000000005CE4: D86C4CC0 8F000011
	ds_read_b32 v146, v17 offset:21760                         // 000000005CEC: D86C5500 92000011
	ds_read_b32 v147, v17 offset:21824                         // 000000005CF4: D86C5540 93000011
	ds_read_b32 v150, v17 offset:23936                         // 000000005CFC: D86C5D80 96000011
	ds_read_b32 v151, v17 offset:24000                         // 000000005D04: D86C5DC0 97000011
	s_waitcnt lgkmcnt(0)                                       // 000000005D0C: BF8CC07F
	v_mov_b32_e32 v7, 0                                        // 000000005D10: 7E0E0280
	s_mov_b64 exec, s[16:17]                                   // 000000005D14: BEFE0110
	v_mov_b32_e32 v6, v80                                      // 000000005D18: 7E0C0350
	s_mov_b64 s[52:53], 0                                      // 000000005D1C: BEB40180
	v_readlane_b32 s72, v3, 0                                  // 000000005D20: D2890048 00010103
	s_cmp_lt_u32 s72, s62                                      // 000000005D28: BF0A3E48
	s_cselect_b32 s20, s16, s52                                // 000000005D2C: 85143410
	v_readlane_b32 s72, v3, 1                                  // 000000005D30: D2890048 00010303
	s_cmp_lt_u32 s72, s62                                      // 000000005D38: BF0A3E48
	s_cselect_b32 s21, s16, s52                                // 000000005D3C: 85153410
	s_mov_b64 exec, s[20:21]                                   // 000000005D40: BEFE0114
	global_atomic_add_f32 v6, v106, s[8:9] offset:8            // 000000005D44: DD348008 00086A06
	global_atomic_add_f32 v6, v110, s[8:9] offset:264          // 000000005D4C: DD348108 00086E06
	s_mov_b64 exec, s[16:17]                                   // 000000005D54: BEFE0110
	v_mov_b32_e32 v6, v81                                      // 000000005D58: 7E0C0351
	s_mov_b64 s[52:53], 0                                      // 000000005D5C: BEB40180
	v_readlane_b32 s72, v3, 2                                  // 000000005D60: D2890048 00010503
	s_cmp_lt_u32 s72, s62                                      // 000000005D68: BF0A3E48
	s_cselect_b32 s20, s16, s52                                // 000000005D6C: 85143410
	v_readlane_b32 s72, v3, 3                                  // 000000005D70: D2890048 00010703
	s_cmp_lt_u32 s72, s62                                      // 000000005D78: BF0A3E48
	s_cselect_b32 s21, s16, s52                                // 000000005D7C: 85153410
	s_mov_b64 exec, s[20:21]                                   // 000000005D80: BEFE0114
	global_atomic_add_f32 v6, v107, s[8:9] offset:8            // 000000005D84: DD348008 00086B06
	global_atomic_add_f32 v6, v111, s[8:9] offset:264          // 000000005D8C: DD348108 00086F06
	s_mov_b64 exec, s[16:17]                                   // 000000005D94: BEFE0110
	v_mov_b32_e32 v6, v82                                      // 000000005D98: 7E0C0352
	s_mov_b64 s[52:53], 0                                      // 000000005D9C: BEB40180
	v_readlane_b32 s72, v3, 4                                  // 000000005DA0: D2890048 00010903
	s_cmp_lt_u32 s72, s62                                      // 000000005DA8: BF0A3E48
	s_cselect_b32 s20, s16, s52                                // 000000005DAC: 85143410
	v_readlane_b32 s72, v3, 5                                  // 000000005DB0: D2890048 00010B03
	s_cmp_lt_u32 s72, s62                                      // 000000005DB8: BF0A3E48
	s_cselect_b32 s21, s16, s52                                // 000000005DBC: 85153410
	s_mov_b64 exec, s[20:21]                                   // 000000005DC0: BEFE0114
	global_atomic_add_f32 v6, v114, s[8:9] offset:8            // 000000005DC4: DD348008 00087206
	global_atomic_add_f32 v6, v118, s[8:9] offset:264          // 000000005DCC: DD348108 00087606
	s_mov_b64 exec, s[16:17]                                   // 000000005DD4: BEFE0110
	v_mov_b32_e32 v6, v83                                      // 000000005DD8: 7E0C0353
	s_mov_b64 s[52:53], 0                                      // 000000005DDC: BEB40180
	v_readlane_b32 s72, v3, 6                                  // 000000005DE0: D2890048 00010D03
	s_cmp_lt_u32 s72, s62                                      // 000000005DE8: BF0A3E48
	s_cselect_b32 s20, s16, s52                                // 000000005DEC: 85143410
	v_readlane_b32 s72, v3, 7                                  // 000000005DF0: D2890048 00010F03
	s_cmp_lt_u32 s72, s62                                      // 000000005DF8: BF0A3E48
	s_cselect_b32 s21, s16, s52                                // 000000005DFC: 85153410
	s_mov_b64 exec, s[20:21]                                   // 000000005E00: BEFE0114
	global_atomic_add_f32 v6, v115, s[8:9] offset:8            // 000000005E04: DD348008 00087306
	global_atomic_add_f32 v6, v119, s[8:9] offset:264          // 000000005E0C: DD348108 00087706
	s_mov_b64 exec, s[16:17]                                   // 000000005E14: BEFE0110
	v_mov_b32_e32 v6, v84                                      // 000000005E18: 7E0C0354
	s_mov_b64 s[52:53], 0                                      // 000000005E1C: BEB40180
	v_readlane_b32 s72, v3, 8                                  // 000000005E20: D2890048 00011103
	s_cmp_lt_u32 s72, s62                                      // 000000005E28: BF0A3E48
	s_cselect_b32 s20, s16, s52                                // 000000005E2C: 85143410
	v_readlane_b32 s72, v3, 9                                  // 000000005E30: D2890048 00011303
	s_cmp_lt_u32 s72, s62                                      // 000000005E38: BF0A3E48
	s_cselect_b32 s21, s16, s52                                // 000000005E3C: 85153410
	s_mov_b64 exec, s[20:21]                                   // 000000005E40: BEFE0114
	global_atomic_add_f32 v6, v122, s[8:9] offset:8            // 000000005E44: DD348008 00087A06
	global_atomic_add_f32 v6, v126, s[8:9] offset:264          // 000000005E4C: DD348108 00087E06
	s_mov_b64 exec, s[16:17]                                   // 000000005E54: BEFE0110
	v_mov_b32_e32 v6, v85                                      // 000000005E58: 7E0C0355
	s_mov_b64 s[52:53], 0                                      // 000000005E5C: BEB40180
	v_readlane_b32 s72, v3, 10                                 // 000000005E60: D2890048 00011503
	s_cmp_lt_u32 s72, s62                                      // 000000005E68: BF0A3E48
	s_cselect_b32 s20, s16, s52                                // 000000005E6C: 85143410
	v_readlane_b32 s72, v3, 11                                 // 000000005E70: D2890048 00011703
	s_cmp_lt_u32 s72, s62                                      // 000000005E78: BF0A3E48
	s_cselect_b32 s21, s16, s52                                // 000000005E7C: 85153410
	s_mov_b64 exec, s[20:21]                                   // 000000005E80: BEFE0114
	global_atomic_add_f32 v6, v123, s[8:9] offset:8            // 000000005E84: DD348008 00087B06
	global_atomic_add_f32 v6, v127, s[8:9] offset:264          // 000000005E8C: DD348108 00087F06
	s_mov_b64 exec, s[16:17]                                   // 000000005E94: BEFE0110
	v_mov_b32_e32 v6, v86                                      // 000000005E98: 7E0C0356
	s_mov_b64 s[52:53], 0                                      // 000000005E9C: BEB40180
	v_readlane_b32 s72, v3, 12                                 // 000000005EA0: D2890048 00011903
	s_cmp_lt_u32 s72, s62                                      // 000000005EA8: BF0A3E48
	s_cselect_b32 s20, s16, s52                                // 000000005EAC: 85143410
	v_readlane_b32 s72, v3, 13                                 // 000000005EB0: D2890048 00011B03
	s_cmp_lt_u32 s72, s62                                      // 000000005EB8: BF0A3E48
	s_cselect_b32 s21, s16, s52                                // 000000005EBC: 85153410
	s_mov_b64 exec, s[20:21]                                   // 000000005EC0: BEFE0114
	global_atomic_add_f32 v6, v130, s[8:9] offset:8            // 000000005EC4: DD348008 00088206
	global_atomic_add_f32 v6, v134, s[8:9] offset:264          // 000000005ECC: DD348108 00088606
	s_mov_b64 exec, s[16:17]                                   // 000000005ED4: BEFE0110
	v_mov_b32_e32 v6, v87                                      // 000000005ED8: 7E0C0357
	s_mov_b64 s[52:53], 0                                      // 000000005EDC: BEB40180
	v_readlane_b32 s72, v3, 14                                 // 000000005EE0: D2890048 00011D03
	s_cmp_lt_u32 s72, s62                                      // 000000005EE8: BF0A3E48
	s_cselect_b32 s20, s16, s52                                // 000000005EEC: 85143410
	v_readlane_b32 s72, v3, 15                                 // 000000005EF0: D2890048 00011F03
	s_cmp_lt_u32 s72, s62                                      // 000000005EF8: BF0A3E48
	s_cselect_b32 s21, s16, s52                                // 000000005EFC: 85153410
	s_mov_b64 exec, s[20:21]                                   // 000000005F00: BEFE0114
	global_atomic_add_f32 v6, v131, s[8:9] offset:8            // 000000005F04: DD348008 00088306
	global_atomic_add_f32 v6, v135, s[8:9] offset:264          // 000000005F0C: DD348108 00088706
	s_mov_b64 exec, s[16:17]                                   // 000000005F14: BEFE0110
	v_mov_b32_e32 v6, v88                                      // 000000005F18: 7E0C0358
	s_mov_b64 s[52:53], 0                                      // 000000005F1C: BEB40180
	v_readlane_b32 s72, v3, 16                                 // 000000005F20: D2890048 00012103
	s_cmp_lt_u32 s72, s62                                      // 000000005F28: BF0A3E48
	s_cselect_b32 s20, s16, s52                                // 000000005F2C: 85143410
	v_readlane_b32 s72, v3, 17                                 // 000000005F30: D2890048 00012303
	s_cmp_lt_u32 s72, s62                                      // 000000005F38: BF0A3E48
	s_cselect_b32 s21, s16, s52                                // 000000005F3C: 85153410
	s_mov_b64 exec, s[20:21]                                   // 000000005F40: BEFE0114
	global_atomic_add_f32 v6, v138, s[8:9] offset:8            // 000000005F44: DD348008 00088A06
	global_atomic_add_f32 v6, v142, s[8:9] offset:264          // 000000005F4C: DD348108 00088E06
	s_mov_b64 exec, s[16:17]                                   // 000000005F54: BEFE0110
	v_mov_b32_e32 v6, v89                                      // 000000005F58: 7E0C0359
	s_mov_b64 s[52:53], 0                                      // 000000005F5C: BEB40180
	v_readlane_b32 s72, v3, 18                                 // 000000005F60: D2890048 00012503
	s_cmp_lt_u32 s72, s62                                      // 000000005F68: BF0A3E48
	s_cselect_b32 s20, s16, s52                                // 000000005F6C: 85143410
	v_readlane_b32 s72, v3, 19                                 // 000000005F70: D2890048 00012703
	s_cmp_lt_u32 s72, s62                                      // 000000005F78: BF0A3E48
	s_cselect_b32 s21, s16, s52                                // 000000005F7C: 85153410
	s_mov_b64 exec, s[20:21]                                   // 000000005F80: BEFE0114
	global_atomic_add_f32 v6, v139, s[8:9] offset:8            // 000000005F84: DD348008 00088B06
	global_atomic_add_f32 v6, v143, s[8:9] offset:264          // 000000005F8C: DD348108 00088F06
	s_mov_b64 exec, s[16:17]                                   // 000000005F94: BEFE0110
	v_mov_b32_e32 v6, v90                                      // 000000005F98: 7E0C035A
	s_mov_b64 s[52:53], 0                                      // 000000005F9C: BEB40180
	v_readlane_b32 s72, v3, 20                                 // 000000005FA0: D2890048 00012903
	s_cmp_lt_u32 s72, s62                                      // 000000005FA8: BF0A3E48
	s_cselect_b32 s20, s16, s52                                // 000000005FAC: 85143410
	v_readlane_b32 s72, v3, 21                                 // 000000005FB0: D2890048 00012B03
	s_cmp_lt_u32 s72, s62                                      // 000000005FB8: BF0A3E48
	s_cselect_b32 s21, s16, s52                                // 000000005FBC: 85153410
	s_mov_b64 exec, s[20:21]                                   // 000000005FC0: BEFE0114
	global_atomic_add_f32 v6, v146, s[8:9] offset:8            // 000000005FC4: DD348008 00089206
	global_atomic_add_f32 v6, v150, s[8:9] offset:264          // 000000005FCC: DD348108 00089606
	s_mov_b64 exec, s[16:17]                                   // 000000005FD4: BEFE0110
	v_mov_b32_e32 v6, v91                                      // 000000005FD8: 7E0C035B
	s_mov_b64 s[52:53], 0                                      // 000000005FDC: BEB40180
	v_readlane_b32 s72, v3, 22                                 // 000000005FE0: D2890048 00012D03
	s_cmp_lt_u32 s72, s62                                      // 000000005FE8: BF0A3E48
	s_cselect_b32 s20, s16, s52                                // 000000005FEC: 85143410
	v_readlane_b32 s72, v3, 23                                 // 000000005FF0: D2890048 00012F03
	s_cmp_lt_u32 s72, s62                                      // 000000005FF8: BF0A3E48
	s_cselect_b32 s21, s16, s52                                // 000000005FFC: 85153410
	s_mov_b64 exec, s[20:21]                                   // 000000006000: BEFE0114
	global_atomic_add_f32 v6, v147, s[8:9] offset:8            // 000000006004: DD348008 00089306
	global_atomic_add_f32 v6, v151, s[8:9] offset:264          // 00000000600C: DD348108 00089706
	s_mov_b64 exec, s[16:17]                                   // 000000006014: BEFE0110
	s_branch label_18F7                                        // 000000006018: BF820B2D

000000000000601c <label_0DCA>:
	s_waitcnt vmcnt(2) lgkmcnt(0)                              // 00000000601C: BF8C0072
	s_barrier                                                  // 000000006020: BF8A0000
	v_mov_b32_e32 v42, v30                                     // 000000006024: 7E54031E
	v_mov_b32_e32 v43, v31                                     // 000000006028: 7E56031F
	v_mov_b32_e32 v44, v32                                     // 00000000602C: 7E580320
	v_mov_b32_e32 v45, v33                                     // 000000006030: 7E5A0321
	v_mov_b32_e32 v46, v34                                     // 000000006034: 7E5C0322
	v_mov_b32_e32 v47, v35                                     // 000000006038: 7E5E0323
	v_mul_f32_dpp v4, v20, v42 row_newbcast:0 row_mask:0xf bank_mask:0xf// 00000000603C: 0A0854FA FF015014
	v_mfma_f32_16x16x128_f8f6f4 v[8:11], a[96:103], a[0:7], 0  // 000000006044: D3AD0008 1A020160
	buffer_load_dword v23, v19, s[32:35], 0 offen              // 00000000604C: E0501000 80081713
	buffer_load_dwordx4 a[112:115], v51, s[76:79], 0 offen     // 000000006054: E05C1000 80937033
	v_mul_f32_dpp v6, v20, v43 row_newbcast:0 row_mask:0xf bank_mask:0xf// 00000000605C: 0A0C56FA FF015014
	v_mfma_f32_16x16x128_f8f6f4 v[12:15], a[96:103], a[8:15], 0// 000000006064: D3AD000C 1A021160
	s_nop 5                                                    // 00000000606C: BF800005
	v_fma_f32 v56, v8, v4, v56                                 // 000000006070: D1CB0038 04E20908
	v_fma_f32 v57, v9, v4, v57                                 // 000000006078: D1CB0039 04E60909
	v_fma_f32 v58, v10, v4, v58                                // 000000006080: D1CB003A 04EA090A
	v_fma_f32 v59, v11, v4, v59                                // 000000006088: D1CB003B 04EE090B
	v_mul_f32_dpp v4, v20, v44 row_newbcast:0 row_mask:0xf bank_mask:0xf// 000000006090: 0A0858FA FF015014
	v_mfma_f32_16x16x128_f8f6f4 v[8:11], a[96:103], a[16:23], 0// 000000006098: D3AD0008 1A022160
	buffer_load_dwordx4 a[116:119], v51, s[76:79], 0 offen offset:1024// 0000000060A0: E05C1400 80937433
	s_nop 5                                                    // 0000000060A8: BF800005
	v_fma_f32 v60, v12, v6, v60                                // 0000000060AC: D1CB003C 04F20D0C
	v_fma_f32 v61, v13, v6, v61                                // 0000000060B4: D1CB003D 04F60D0D
	v_fma_f32 v62, v14, v6, v62                                // 0000000060BC: D1CB003E 04FA0D0E
	v_fma_f32 v63, v15, v6, v63                                // 0000000060C4: D1CB003F 04FE0D0F
	v_mul_f32_dpp v6, v20, v45 row_newbcast:0 row_mask:0xf bank_mask:0xf// 0000000060CC: 0A0C5AFA FF015014
	v_mfma_f32_16x16x128_f8f6f4 v[12:15], a[96:103], a[24:31], 0// 0000000060D4: D3AD000C 1A023160
	s_nop 5                                                    // 0000000060DC: BF800005
	v_fma_f32 v64, v8, v4, v64                                 // 0000000060E0: D1CB0040 05020908
	v_fma_f32 v65, v9, v4, v65                                 // 0000000060E8: D1CB0041 05060909
	v_fma_f32 v66, v10, v4, v66                                // 0000000060F0: D1CB0042 050A090A
	v_fma_f32 v67, v11, v4, v67                                // 0000000060F8: D1CB0043 050E090B
	v_mul_f32_dpp v4, v20, v46 row_newbcast:0 row_mask:0xf bank_mask:0xf// 000000006100: 0A085CFA FF015014
	v_mfma_f32_16x16x128_f8f6f4 v[8:11], a[96:103], a[32:39], 0// 000000006108: D3AD0008 1A024160
	buffer_load_dwordx4 a[120:123], v52, s[76:79], 0 offen     // 000000006110: E05C1000 80937834
	s_nop 5                                                    // 000000006118: BF800005
	v_fma_f32 v68, v12, v6, v68                                // 00000000611C: D1CB0044 05120D0C
	v_fma_f32 v69, v13, v6, v69                                // 000000006124: D1CB0045 05160D0D
	v_fma_f32 v70, v14, v6, v70                                // 00000000612C: D1CB0046 051A0D0E
	v_fma_f32 v71, v15, v6, v71                                // 000000006134: D1CB0047 051E0D0F
	v_mul_f32_dpp v6, v20, v47 row_newbcast:0 row_mask:0xf bank_mask:0xf// 00000000613C: 0A0C5EFA FF015014
	v_mfma_f32_16x16x128_f8f6f4 v[12:15], a[96:103], a[40:47], 0// 000000006144: D3AD000C 1A025160
	s_nop 5                                                    // 00000000614C: BF800005
	v_fma_f32 v72, v8, v4, v72                                 // 000000006150: D1CB0048 05220908
	v_fma_f32 v73, v9, v4, v73                                 // 000000006158: D1CB0049 05260909
	v_fma_f32 v74, v10, v4, v74                                // 000000006160: D1CB004A 052A090A
	v_fma_f32 v75, v11, v4, v75                                // 000000006168: D1CB004B 052E090B
	s_waitcnt vmcnt(4)                                         // 000000006170: BF8C0F74
	v_mul_f32_dpp v4, v20, v42 row_newbcast:0 row_mask:0xf bank_mask:0xf// 000000006174: 0A0854FA FF015014
	v_mfma_f32_16x16x128_f8f6f4 v[8:11], a[104:111], a[0:7], 0 // 00000000617C: D3AD0008 1A020168
	buffer_load_dwordx4 a[124:127], v52, s[76:79], 0 offen offset:1024// 000000006184: E05C1400 80937C34
	s_nop 5                                                    // 00000000618C: BF800005
	v_fma_f32 v76, v12, v6, v76                                // 000000006190: D1CB004C 05320D0C
	v_fma_f32 v77, v13, v6, v77                                // 000000006198: D1CB004D 05360D0D
	v_fma_f32 v78, v14, v6, v78                                // 0000000061A0: D1CB004E 053A0D0E
	v_fma_f32 v79, v15, v6, v79                                // 0000000061A8: D1CB004F 053E0D0F
	v_mul_f32_dpp v6, v20, v43 row_newbcast:0 row_mask:0xf bank_mask:0xf// 0000000061B0: 0A0C56FA FF015014
	v_mfma_f32_16x16x128_f8f6f4 v[12:15], a[104:111], a[8:15], 0// 0000000061B8: D3AD000C 1A021168
	s_nop 5                                                    // 0000000061C0: BF800005
	v_fma_f32 v80, v8, v4, v80                                 // 0000000061C4: D1CB0050 05420908
	v_fma_f32 v81, v9, v4, v81                                 // 0000000061CC: D1CB0051 05460909
	v_fma_f32 v82, v10, v4, v82                                // 0000000061D4: D1CB0052 054A090A
	v_fma_f32 v83, v11, v4, v83                                // 0000000061DC: D1CB0053 054E090B
	v_mul_f32_dpp v4, v20, v44 row_newbcast:0 row_mask:0xf bank_mask:0xf// 0000000061E4: 0A0858FA FF015014
	v_mfma_f32_16x16x128_f8f6f4 v[8:11], a[104:111], a[16:23], 0// 0000000061EC: D3AD0008 1A022168
	buffer_load_dwordx4 v48, s[20:23], 0 offen lds             // 0000000061F4: E05D1000 80050030
	s_add_u32 m0, 0x400, s46                                   // 0000000061FC: 807C2EFF 00000400
	s_nop 5                                                    // 000000006204: BF800005
	v_fma_f32 v84, v12, v6, v84                                // 000000006208: D1CB0054 05520D0C
	v_fma_f32 v85, v13, v6, v85                                // 000000006210: D1CB0055 05560D0D
	v_fma_f32 v86, v14, v6, v86                                // 000000006218: D1CB0056 055A0D0E
	v_fma_f32 v87, v15, v6, v87                                // 000000006220: D1CB0057 055E0D0F
	v_mul_f32_dpp v6, v20, v45 row_newbcast:0 row_mask:0xf bank_mask:0xf// 000000006228: 0A0C5AFA FF015014
	v_mfma_f32_16x16x128_f8f6f4 v[12:15], a[104:111], a[24:31], 0// 000000006230: D3AD000C 1A023168
	s_nop 5                                                    // 000000006238: BF800005
	v_fma_f32 v88, v8, v4, v88                                 // 00000000623C: D1CB0058 05620908
	v_fma_f32 v89, v9, v4, v89                                 // 000000006244: D1CB0059 05660909
	v_fma_f32 v90, v10, v4, v90                                // 00000000624C: D1CB005A 056A090A
	v_fma_f32 v91, v11, v4, v91                                // 000000006254: D1CB005B 056E090B
	v_mul_f32_dpp v4, v20, v46 row_newbcast:0 row_mask:0xf bank_mask:0xf// 00000000625C: 0A085CFA FF015014
	v_mfma_f32_16x16x128_f8f6f4 v[8:11], a[104:111], a[32:39], 0// 000000006264: D3AD0008 1A024168
	buffer_load_dwordx4 v49, s[20:23], 0 offen lds             // 00000000626C: E05D1000 80050031
	s_add_u32 m0, 0x800, s46                                   // 000000006274: 807C2EFF 00000800
	s_add_u32 s52, 0x80, s70                                   // 00000000627C: 803446FF 00000080
	s_cmp_lt_u32 s52, s71                                      // 000000006284: BF0A4734
	s_cselect_b32 s73, s73, 0                                  // 000000006288: 85498049
	s_cselect_b32 s4, s4, 0                                    // 00000000628C: 85048004
	s_nop 5                                                    // 000000006290: BF800005
	v_fma_f32 v92, v12, v6, v92                                // 000000006294: D1CB005C 05720D0C
	v_fma_f32 v93, v13, v6, v93                                // 00000000629C: D1CB005D 05760D0D
	v_fma_f32 v94, v14, v6, v94                                // 0000000062A4: D1CB005E 057A0D0E
	v_fma_f32 v95, v15, v6, v95                                // 0000000062AC: D1CB005F 057E0D0F
	v_mul_f32_dpp v6, v20, v47 row_newbcast:0 row_mask:0xf bank_mask:0xf// 0000000062B4: 0A0C5EFA FF015014
	v_mfma_f32_16x16x128_f8f6f4 v[12:15], a[104:111], a[40:47], 0// 0000000062BC: D3AD000C 1A025168
	s_add_u32 s32, s4, s32                                     // 0000000062C4: 80202004
	s_addc_u32 s33, 0, s33                                     // 0000000062C8: 82212180
	s_nop 5                                                    // 0000000062CC: BF800005
	v_fma_f32 v96, v8, v4, v96                                 // 0000000062D0: D1CB0060 05820908
	v_fma_f32 v97, v9, v4, v97                                 // 0000000062D8: D1CB0061 05860909
	v_fma_f32 v98, v10, v4, v98                                // 0000000062E0: D1CB0062 058A090A
	v_fma_f32 v99, v11, v4, v99                                // 0000000062E8: D1CB0063 058E090B
	s_nop 5                                                    // 0000000062F0: BF800005
	v_fma_f32 v100, v12, v6, v100                              // 0000000062F4: D1CB0064 05920D0C
	v_fma_f32 v101, v13, v6, v101                              // 0000000062FC: D1CB0065 05960D0D
	v_fma_f32 v102, v14, v6, v102                              // 000000006304: D1CB0066 059A0D0E
	v_fma_f32 v103, v15, v6, v103                              // 00000000630C: D1CB0067 059E0D0F
	buffer_load_dwordx4 v50, s[20:23], 0 offen lds             // 000000006314: E05D1000 80050032
	s_add_u32 m0, 0, s47                                       // 00000000631C: 807C2F80
	buffer_load_dword v30, v24, s[28:31], 0 offen              // 000000006320: E0501000 80071E18
	buffer_load_dword v31, v25, s[28:31], 0 offen              // 000000006328: E0501000 80071F19
	buffer_load_dword v32, v26, s[28:31], 0 offen              // 000000006330: E0501000 8007201A
	buffer_load_dword v33, v27, s[28:31], 0 offen              // 000000006338: E0501000 8007211B
	buffer_load_dword v34, v28, s[28:31], 0 offen              // 000000006340: E0501000 8007221C
	buffer_load_dword v35, v29, s[28:31], 0 offen              // 000000006348: E0501000 8007231D
	s_waitcnt vmcnt(9)                                         // 000000006350: BF8C0F79
	v_mul_f32_dpp v4, v23, v42 row_newbcast:0 row_mask:0xf bank_mask:0xf// 000000006354: 0A0854FA FF015017
	v_mfma_f32_16x16x128_f8f6f4 v[8:11], a[112:119], a[0:7], 0 // 00000000635C: D3AD0008 1A020170
	buffer_load_dword v20, v18, s[32:35], 0 offen              // 000000006364: E0501000 80081412
	buffer_load_dwordx4 a[96:99], v51, s[24:27], 0 offen       // 00000000636C: E05C1000 80866033
	v_mfma_f32_16x16x128_f8f6f4 v[12:15], a[120:127], a[0:7], 0// 000000006374: D3AD000C 1A020178
	ds_read_b128 a[48:51], v2 offset:12416                     // 00000000637C: DBFE3080 30000002
	ds_read_b128 a[52:55], v2 offset:12480                     // 000000006384: DBFE30C0 34000002
	s_nop 5                                                    // 00000000638C: BF800005
	v_fma_f32 v104, v8, v4, v104                               // 000000006390: D1CB0068 05A20908
	v_fma_f32 v105, v9, v4, v105                               // 000000006398: D1CB0069 05A60909
	v_fma_f32 v106, v10, v4, v106                              // 0000000063A0: D1CB006A 05AA090A
	v_fma_f32 v107, v11, v4, v107                              // 0000000063A8: D1CB006B 05AE090B
	v_mul_f32_dpp v6, v23, v43 row_newbcast:0 row_mask:0xf bank_mask:0xf// 0000000063B0: 0A0C56FA FF015017
	v_mfma_f32_16x16x128_f8f6f4 v[8:11], a[112:119], a[8:15], 0// 0000000063B8: D3AD0008 1A021170
	buffer_load_dwordx4 a[100:103], v51, s[24:27], 0 offen offset:1024// 0000000063C0: E05C1400 80866433
	s_nop 5                                                    // 0000000063C8: BF800005
	v_fma_f32 v128, v12, v4, v128                              // 0000000063CC: D1CB0080 0602090C
	v_fma_f32 v129, v13, v4, v129                              // 0000000063D4: D1CB0081 0606090D
	v_fma_f32 v130, v14, v4, v130                              // 0000000063DC: D1CB0082 060A090E
	v_fma_f32 v131, v15, v4, v131                              // 0000000063E4: D1CB0083 060E090F
	v_mfma_f32_16x16x128_f8f6f4 v[12:15], a[120:127], a[8:15], 0// 0000000063EC: D3AD000C 1A021178
	ds_read_b128 a[56:59], v2 offset:12928                     // 0000000063F4: DBFE3280 38000002
	ds_read_b128 a[60:63], v2 offset:12992                     // 0000000063FC: DBFE32C0 3C000002
	s_nop 5                                                    // 000000006404: BF800005
	v_fma_f32 v108, v8, v6, v108                               // 000000006408: D1CB006C 05B20D08
	v_fma_f32 v109, v9, v6, v109                               // 000000006410: D1CB006D 05B60D09
	v_fma_f32 v110, v10, v6, v110                              // 000000006418: D1CB006E 05BA0D0A
	v_fma_f32 v111, v11, v6, v111                              // 000000006420: D1CB006F 05BE0D0B
	v_mul_f32_dpp v4, v23, v44 row_newbcast:0 row_mask:0xf bank_mask:0xf// 000000006428: 0A0858FA FF015017
	v_mfma_f32_16x16x128_f8f6f4 v[8:11], a[112:119], a[16:23], 0// 000000006430: D3AD0008 1A022170
	buffer_load_dwordx4 a[104:107], v52, s[24:27], 0 offen     // 000000006438: E05C1000 80866834
	s_nop 5                                                    // 000000006440: BF800005
	v_fma_f32 v132, v12, v6, v132                              // 000000006444: D1CB0084 06120D0C
	v_fma_f32 v133, v13, v6, v133                              // 00000000644C: D1CB0085 06160D0D
	v_fma_f32 v134, v14, v6, v134                              // 000000006454: D1CB0086 061A0D0E
	v_fma_f32 v135, v15, v6, v135                              // 00000000645C: D1CB0087 061E0D0F
	v_mfma_f32_16x16x128_f8f6f4 v[12:15], a[120:127], a[16:23], 0// 000000006464: D3AD000C 1A022178
	ds_read_b128 a[64:67], v2 offset:13440                     // 00000000646C: DBFE3480 40000002
	ds_read_b128 a[68:71], v2 offset:13504                     // 000000006474: DBFE34C0 44000002
	s_nop 5                                                    // 00000000647C: BF800005
	v_fma_f32 v112, v8, v4, v112                               // 000000006480: D1CB0070 05C20908
	v_fma_f32 v113, v9, v4, v113                               // 000000006488: D1CB0071 05C60909
	v_fma_f32 v114, v10, v4, v114                              // 000000006490: D1CB0072 05CA090A
	v_fma_f32 v115, v11, v4, v115                              // 000000006498: D1CB0073 05CE090B
	v_mul_f32_dpp v6, v23, v45 row_newbcast:0 row_mask:0xf bank_mask:0xf// 0000000064A0: 0A0C5AFA FF015017
	v_mfma_f32_16x16x128_f8f6f4 v[8:11], a[112:119], a[24:31], 0// 0000000064A8: D3AD0008 1A023170
	buffer_load_dwordx4 a[108:111], v52, s[24:27], 0 offen offset:1024// 0000000064B0: E05C1400 80866C34
	s_nop 5                                                    // 0000000064B8: BF800005
	v_fma_f32 v136, v12, v4, v136                              // 0000000064BC: D1CB0088 0622090C
	v_fma_f32 v137, v13, v4, v137                              // 0000000064C4: D1CB0089 0626090D
	v_fma_f32 v138, v14, v4, v138                              // 0000000064CC: D1CB008A 062A090E
	v_fma_f32 v139, v15, v4, v139                              // 0000000064D4: D1CB008B 062E090F
	v_mfma_f32_16x16x128_f8f6f4 v[12:15], a[120:127], a[24:31], 0// 0000000064DC: D3AD000C 1A023178
	ds_read_b128 a[72:75], v2 offset:13952                     // 0000000064E4: DBFE3680 48000002
	ds_read_b128 a[76:79], v2 offset:14016                     // 0000000064EC: DBFE36C0 4C000002
	s_add_u32 s52, 0x100, s70                                  // 0000000064F4: 803446FF 00000100
	s_cmp_lt_u32 s52, s71                                      // 0000000064FC: BF0A4734
	s_cselect_b32 s58, s58, 0                                  // 000000006500: 853A803A
	s_nop 5                                                    // 000000006504: BF800005
	v_fma_f32 v116, v8, v6, v116                               // 000000006508: D1CB0074 05D20D08
	v_fma_f32 v117, v9, v6, v117                               // 000000006510: D1CB0075 05D60D09
	v_fma_f32 v118, v10, v6, v118                              // 000000006518: D1CB0076 05DA0D0A
	v_fma_f32 v119, v11, v6, v119                              // 000000006520: D1CB0077 05DE0D0B
	v_mul_f32_dpp v4, v23, v46 row_newbcast:0 row_mask:0xf bank_mask:0xf// 000000006528: 0A085CFA FF015017
	v_mfma_f32_16x16x128_f8f6f4 v[8:11], a[112:119], a[32:39], 0// 000000006530: D3AD0008 1A024170
	s_add_u32 s76, s73, s24                                    // 000000006538: 804C1849
	s_addc_u32 s77, 0, s77                                     // 00000000653C: 824D4D80
	s_nop 5                                                    // 000000006540: BF800005
	v_fma_f32 v140, v12, v6, v140                              // 000000006544: D1CB008C 06320D0C
	v_fma_f32 v141, v13, v6, v141                              // 00000000654C: D1CB008D 06360D0D
	v_fma_f32 v142, v14, v6, v142                              // 000000006554: D1CB008E 063A0D0E
	v_fma_f32 v143, v15, v6, v143                              // 00000000655C: D1CB008F 063E0D0F
	v_mfma_f32_16x16x128_f8f6f4 v[12:15], a[120:127], a[32:39], 0// 000000006564: D3AD000C 1A024178
	ds_read_b128 a[80:83], v2 offset:14464                     // 00000000656C: DBFE3880 50000002
	ds_read_b128 a[84:87], v2 offset:14528                     // 000000006574: DBFE38C0 54000002
	s_add_u32 s52, 0x180, s70                                  // 00000000657C: 803446FF 00000180
	s_cmp_lt_u32 s52, s71                                      // 000000006584: BF0A4734
	s_cselect_b32 s57, s57, 0                                  // 000000006588: 85398039
	s_cselect_b32 s6, s6, 0                                    // 00000000658C: 85068006
	s_nop 5                                                    // 000000006590: BF800005
	v_fma_f32 v120, v8, v4, v120                               // 000000006594: D1CB0078 05E20908
	v_fma_f32 v121, v9, v4, v121                               // 00000000659C: D1CB0079 05E60909
	v_fma_f32 v122, v10, v4, v122                              // 0000000065A4: D1CB007A 05EA090A
	v_fma_f32 v123, v11, v4, v123                              // 0000000065AC: D1CB007B 05EE090B
	v_mul_f32_dpp v6, v23, v47 row_newbcast:0 row_mask:0xf bank_mask:0xf// 0000000065B4: 0A0C5EFA FF015017
	v_mfma_f32_16x16x128_f8f6f4 v[8:11], a[112:119], a[40:47], 0// 0000000065BC: D3AD0008 1A025170
	s_add_u32 s20, s57, s20                                    // 0000000065C4: 80141439
	s_addc_u32 s21, 0, s21                                     // 0000000065C8: 82151580
	s_add_u32 s28, s6, s28                                     // 0000000065CC: 801C1C06
	s_addc_u32 s29, 0, s29                                     // 0000000065D0: 821D1D80
	s_nop 5                                                    // 0000000065D4: BF800005
	v_fma_f32 v144, v12, v4, v144                              // 0000000065D8: D1CB0090 0642090C
	v_fma_f32 v145, v13, v4, v145                              // 0000000065E0: D1CB0091 0646090D
	v_fma_f32 v146, v14, v4, v146                              // 0000000065E8: D1CB0092 064A090E
	v_fma_f32 v147, v15, v4, v147                              // 0000000065F0: D1CB0093 064E090F
	v_mfma_f32_16x16x128_f8f6f4 v[12:15], a[120:127], a[40:47], 0// 0000000065F8: D3AD000C 1A025178
	ds_read_b128 a[88:91], v2 offset:14976                     // 000000006600: DBFE3A80 58000002
	ds_read_b128 a[92:95], v2 offset:15040                     // 000000006608: DBFE3AC0 5C000002
	s_add_u32 s24, s58, s24                                    // 000000006610: 8018183A
	s_addc_u32 s25, 0, s25                                     // 000000006614: 82191980
	s_nop 5                                                    // 000000006618: BF800005
	v_fma_f32 v124, v8, v6, v124                               // 00000000661C: D1CB007C 05F20D08
	v_fma_f32 v125, v9, v6, v125                               // 000000006624: D1CB007D 05F60D09
	v_fma_f32 v126, v10, v6, v126                              // 00000000662C: D1CB007E 05FA0D0A
	v_fma_f32 v127, v11, v6, v127                              // 000000006634: D1CB007F 05FE0D0B
	s_nop 5                                                    // 00000000663C: BF800005
	v_fma_f32 v148, v12, v6, v148                              // 000000006640: D1CB0094 06520D0C
	v_fma_f32 v149, v13, v6, v149                              // 000000006648: D1CB0095 06560D0D
	v_fma_f32 v150, v14, v6, v150                              // 000000006650: D1CB0096 065A0D0E
	v_fma_f32 v151, v15, v6, v151                              // 000000006658: D1CB0097 065E0D0F
	s_addk_i32 s70, 0x80                                       // 000000006660: B7460080
	s_cmp_lt_i32 s70, s71                                      // 000000006664: BF044746
	s_cbranch_scc0 label_10F3                                  // 000000006668: BF840195
	s_waitcnt vmcnt(2) lgkmcnt(0)                              // 00000000666C: BF8C0072
	s_barrier                                                  // 000000006670: BF8A0000
	v_mov_b32_e32 v42, v36                                     // 000000006674: 7E540324
	v_mov_b32_e32 v43, v37                                     // 000000006678: 7E560325
	v_mov_b32_e32 v44, v38                                     // 00000000667C: 7E580326
	v_mov_b32_e32 v45, v39                                     // 000000006680: 7E5A0327
	v_mov_b32_e32 v46, v40                                     // 000000006684: 7E5C0328
	v_mov_b32_e32 v47, v41                                     // 000000006688: 7E5E0329
	v_mul_f32_dpp v4, v20, v42 row_newbcast:0 row_mask:0xf bank_mask:0xf// 00000000668C: 0A0854FA FF015014
	v_mfma_f32_16x16x128_f8f6f4 v[8:11], a[96:103], a[48:55], 0// 000000006694: D3AD0008 1A026160
	buffer_load_dword v23, v19, s[32:35], 0 offen              // 00000000669C: E0501000 80081713
	buffer_load_dwordx4 a[112:115], v51, s[76:79], 0 offen     // 0000000066A4: E05C1000 80937033
	v_mul_f32_dpp v6, v20, v43 row_newbcast:0 row_mask:0xf bank_mask:0xf// 0000000066AC: 0A0C56FA FF015014
	v_mfma_f32_16x16x128_f8f6f4 v[12:15], a[96:103], a[56:63], 0// 0000000066B4: D3AD000C 1A027160
	s_nop 5                                                    // 0000000066BC: BF800005
	v_fma_f32 v56, v8, v4, v56                                 // 0000000066C0: D1CB0038 04E20908
	v_fma_f32 v57, v9, v4, v57                                 // 0000000066C8: D1CB0039 04E60909
	v_fma_f32 v58, v10, v4, v58                                // 0000000066D0: D1CB003A 04EA090A
	v_fma_f32 v59, v11, v4, v59                                // 0000000066D8: D1CB003B 04EE090B
	v_mul_f32_dpp v4, v20, v44 row_newbcast:0 row_mask:0xf bank_mask:0xf// 0000000066E0: 0A0858FA FF015014
	v_mfma_f32_16x16x128_f8f6f4 v[8:11], a[96:103], a[64:71], 0// 0000000066E8: D3AD0008 1A028160
	buffer_load_dwordx4 a[116:119], v51, s[76:79], 0 offen offset:1024// 0000000066F0: E05C1400 80937433
	s_nop 5                                                    // 0000000066F8: BF800005
	v_fma_f32 v60, v12, v6, v60                                // 0000000066FC: D1CB003C 04F20D0C
	v_fma_f32 v61, v13, v6, v61                                // 000000006704: D1CB003D 04F60D0D
	v_fma_f32 v62, v14, v6, v62                                // 00000000670C: D1CB003E 04FA0D0E
	v_fma_f32 v63, v15, v6, v63                                // 000000006714: D1CB003F 04FE0D0F
	v_mul_f32_dpp v6, v20, v45 row_newbcast:0 row_mask:0xf bank_mask:0xf// 00000000671C: 0A0C5AFA FF015014
	v_mfma_f32_16x16x128_f8f6f4 v[12:15], a[96:103], a[72:79], 0// 000000006724: D3AD000C 1A029160
	s_nop 5                                                    // 00000000672C: BF800005
	v_fma_f32 v64, v8, v4, v64                                 // 000000006730: D1CB0040 05020908
	v_fma_f32 v65, v9, v4, v65                                 // 000000006738: D1CB0041 05060909
	v_fma_f32 v66, v10, v4, v66                                // 000000006740: D1CB0042 050A090A
	v_fma_f32 v67, v11, v4, v67                                // 000000006748: D1CB0043 050E090B
	v_mul_f32_dpp v4, v20, v46 row_newbcast:0 row_mask:0xf bank_mask:0xf// 000000006750: 0A085CFA FF015014
	v_mfma_f32_16x16x128_f8f6f4 v[8:11], a[96:103], a[80:87], 0// 000000006758: D3AD0008 1A02A160
	buffer_load_dwordx4 a[120:123], v52, s[76:79], 0 offen     // 000000006760: E05C1000 80937834
	s_nop 5                                                    // 000000006768: BF800005
	v_fma_f32 v68, v12, v6, v68                                // 00000000676C: D1CB0044 05120D0C
	v_fma_f32 v69, v13, v6, v69                                // 000000006774: D1CB0045 05160D0D
	v_fma_f32 v70, v14, v6, v70                                // 00000000677C: D1CB0046 051A0D0E
	v_fma_f32 v71, v15, v6, v71                                // 000000006784: D1CB0047 051E0D0F
	v_mul_f32_dpp v6, v20, v47 row_newbcast:0 row_mask:0xf bank_mask:0xf// 00000000678C: 0A0C5EFA FF015014
	v_mfma_f32_16x16x128_f8f6f4 v[12:15], a[96:103], a[88:95], 0// 000000006794: D3AD000C 1A02B160
	s_nop 5                                                    // 00000000679C: BF800005
	v_fma_f32 v72, v8, v4, v72                                 // 0000000067A0: D1CB0048 05220908
	v_fma_f32 v73, v9, v4, v73                                 // 0000000067A8: D1CB0049 05260909
	v_fma_f32 v74, v10, v4, v74                                // 0000000067B0: D1CB004A 052A090A
	v_fma_f32 v75, v11, v4, v75                                // 0000000067B8: D1CB004B 052E090B
	s_waitcnt vmcnt(4)                                         // 0000000067C0: BF8C0F74
	v_mul_f32_dpp v4, v20, v42 row_newbcast:0 row_mask:0xf bank_mask:0xf// 0000000067C4: 0A0854FA FF015014
	v_mfma_f32_16x16x128_f8f6f4 v[8:11], a[104:111], a[48:55], 0// 0000000067CC: D3AD0008 1A026168
	buffer_load_dwordx4 a[124:127], v52, s[76:79], 0 offen offset:1024// 0000000067D4: E05C1400 80937C34
	s_nop 5                                                    // 0000000067DC: BF800005
	v_fma_f32 v76, v12, v6, v76                                // 0000000067E0: D1CB004C 05320D0C
	v_fma_f32 v77, v13, v6, v77                                // 0000000067E8: D1CB004D 05360D0D
	v_fma_f32 v78, v14, v6, v78                                // 0000000067F0: D1CB004E 053A0D0E
	v_fma_f32 v79, v15, v6, v79                                // 0000000067F8: D1CB004F 053E0D0F
	v_mul_f32_dpp v6, v20, v43 row_newbcast:0 row_mask:0xf bank_mask:0xf// 000000006800: 0A0C56FA FF015014
	v_mfma_f32_16x16x128_f8f6f4 v[12:15], a[104:111], a[56:63], 0// 000000006808: D3AD000C 1A027168
	s_nop 5                                                    // 000000006810: BF800005
	v_fma_f32 v80, v8, v4, v80                                 // 000000006814: D1CB0050 05420908
	v_fma_f32 v81, v9, v4, v81                                 // 00000000681C: D1CB0051 05460909
	v_fma_f32 v82, v10, v4, v82                                // 000000006824: D1CB0052 054A090A
	v_fma_f32 v83, v11, v4, v83                                // 00000000682C: D1CB0053 054E090B
	v_mul_f32_dpp v4, v20, v44 row_newbcast:0 row_mask:0xf bank_mask:0xf// 000000006834: 0A0858FA FF015014
	v_mfma_f32_16x16x128_f8f6f4 v[8:11], a[104:111], a[64:71], 0// 00000000683C: D3AD0008 1A028168
	buffer_load_dwordx4 v48, s[20:23], 0 offen lds             // 000000006844: E05D1000 80050030
	s_add_u32 m0, 0x400, s47                                   // 00000000684C: 807C2FFF 00000400
	s_nop 5                                                    // 000000006854: BF800005
	v_fma_f32 v84, v12, v6, v84                                // 000000006858: D1CB0054 05520D0C
	v_fma_f32 v85, v13, v6, v85                                // 000000006860: D1CB0055 05560D0D
	v_fma_f32 v86, v14, v6, v86                                // 000000006868: D1CB0056 055A0D0E
	v_fma_f32 v87, v15, v6, v87                                // 000000006870: D1CB0057 055E0D0F
	v_mul_f32_dpp v6, v20, v45 row_newbcast:0 row_mask:0xf bank_mask:0xf// 000000006878: 0A0C5AFA FF015014
	v_mfma_f32_16x16x128_f8f6f4 v[12:15], a[104:111], a[72:79], 0// 000000006880: D3AD000C 1A029168
	s_nop 5                                                    // 000000006888: BF800005
	v_fma_f32 v88, v8, v4, v88                                 // 00000000688C: D1CB0058 05620908
	v_fma_f32 v89, v9, v4, v89                                 // 000000006894: D1CB0059 05660909
	v_fma_f32 v90, v10, v4, v90                                // 00000000689C: D1CB005A 056A090A
	v_fma_f32 v91, v11, v4, v91                                // 0000000068A4: D1CB005B 056E090B
	v_mul_f32_dpp v4, v20, v46 row_newbcast:0 row_mask:0xf bank_mask:0xf// 0000000068AC: 0A085CFA FF015014
	v_mfma_f32_16x16x128_f8f6f4 v[8:11], a[104:111], a[80:87], 0// 0000000068B4: D3AD0008 1A02A168
	buffer_load_dwordx4 v49, s[20:23], 0 offen lds             // 0000000068BC: E05D1000 80050031
	s_add_u32 m0, 0x800, s47                                   // 0000000068C4: 807C2FFF 00000800
	s_add_u32 s52, 0x80, s70                                   // 0000000068CC: 803446FF 00000080
	s_cmp_lt_u32 s52, s71                                      // 0000000068D4: BF0A4734
	s_cselect_b32 s73, s73, 0                                  // 0000000068D8: 85498049
	s_cselect_b32 s4, s4, 0                                    // 0000000068DC: 85048004
	s_nop 5                                                    // 0000000068E0: BF800005
	v_fma_f32 v92, v12, v6, v92                                // 0000000068E4: D1CB005C 05720D0C
	v_fma_f32 v93, v13, v6, v93                                // 0000000068EC: D1CB005D 05760D0D
	v_fma_f32 v94, v14, v6, v94                                // 0000000068F4: D1CB005E 057A0D0E
	v_fma_f32 v95, v15, v6, v95                                // 0000000068FC: D1CB005F 057E0D0F
	v_mul_f32_dpp v6, v20, v47 row_newbcast:0 row_mask:0xf bank_mask:0xf// 000000006904: 0A0C5EFA FF015014
	v_mfma_f32_16x16x128_f8f6f4 v[12:15], a[104:111], a[88:95], 0// 00000000690C: D3AD000C 1A02B168
	s_add_u32 s32, s4, s32                                     // 000000006914: 80202004
	s_addc_u32 s33, 0, s33                                     // 000000006918: 82212180
	s_nop 5                                                    // 00000000691C: BF800005
	v_fma_f32 v96, v8, v4, v96                                 // 000000006920: D1CB0060 05820908
	v_fma_f32 v97, v9, v4, v97                                 // 000000006928: D1CB0061 05860909
	v_fma_f32 v98, v10, v4, v98                                // 000000006930: D1CB0062 058A090A
	v_fma_f32 v99, v11, v4, v99                                // 000000006938: D1CB0063 058E090B
	s_nop 5                                                    // 000000006940: BF800005
	v_fma_f32 v100, v12, v6, v100                              // 000000006944: D1CB0064 05920D0C
	v_fma_f32 v101, v13, v6, v101                              // 00000000694C: D1CB0065 05960D0D
	v_fma_f32 v102, v14, v6, v102                              // 000000006954: D1CB0066 059A0D0E
	v_fma_f32 v103, v15, v6, v103                              // 00000000695C: D1CB0067 059E0D0F
	buffer_load_dwordx4 v50, s[20:23], 0 offen lds             // 000000006964: E05D1000 80050032
	s_add_u32 m0, 0, s46                                       // 00000000696C: 807C2E80
	buffer_load_dword v36, v24, s[28:31], 0 offen              // 000000006970: E0501000 80072418
	buffer_load_dword v37, v25, s[28:31], 0 offen              // 000000006978: E0501000 80072519
	buffer_load_dword v38, v26, s[28:31], 0 offen              // 000000006980: E0501000 8007261A
	buffer_load_dword v39, v27, s[28:31], 0 offen              // 000000006988: E0501000 8007271B
	buffer_load_dword v40, v28, s[28:31], 0 offen              // 000000006990: E0501000 8007281C
	buffer_load_dword v41, v29, s[28:31], 0 offen              // 000000006998: E0501000 8007291D
	s_waitcnt vmcnt(9)                                         // 0000000069A0: BF8C0F79
	v_mul_f32_dpp v4, v23, v42 row_newbcast:0 row_mask:0xf bank_mask:0xf// 0000000069A4: 0A0854FA FF015017
	v_mfma_f32_16x16x128_f8f6f4 v[8:11], a[112:119], a[48:55], 0// 0000000069AC: D3AD0008 1A026170
	buffer_load_dword v20, v18, s[32:35], 0 offen              // 0000000069B4: E0501000 80081412
	buffer_load_dwordx4 a[96:99], v51, s[24:27], 0 offen       // 0000000069BC: E05C1000 80866033
	v_mfma_f32_16x16x128_f8f6f4 v[12:15], a[120:127], a[48:55], 0// 0000000069C4: D3AD000C 1A026178
	ds_read_b128 a[0:3], v2                                    // 0000000069CC: DBFE0000 00000002
	ds_read_b128 a[4:7], v2 offset:64                          // 0000000069D4: DBFE0040 04000002
	s_nop 5                                                    // 0000000069DC: BF800005
	v_fma_f32 v104, v8, v4, v104                               // 0000000069E0: D1CB0068 05A20908
	v_fma_f32 v105, v9, v4, v105                               // 0000000069E8: D1CB0069 05A60909
	v_fma_f32 v106, v10, v4, v106                              // 0000000069F0: D1CB006A 05AA090A
	v_fma_f32 v107, v11, v4, v107                              // 0000000069F8: D1CB006B 05AE090B
	v_mul_f32_dpp v6, v23, v43 row_newbcast:0 row_mask:0xf bank_mask:0xf// 000000006A00: 0A0C56FA FF015017
	v_mfma_f32_16x16x128_f8f6f4 v[8:11], a[112:119], a[56:63], 0// 000000006A08: D3AD0008 1A027170
	buffer_load_dwordx4 a[100:103], v51, s[24:27], 0 offen offset:1024// 000000006A10: E05C1400 80866433
	s_nop 5                                                    // 000000006A18: BF800005
	v_fma_f32 v128, v12, v4, v128                              // 000000006A1C: D1CB0080 0602090C
	v_fma_f32 v129, v13, v4, v129                              // 000000006A24: D1CB0081 0606090D
	v_fma_f32 v130, v14, v4, v130                              // 000000006A2C: D1CB0082 060A090E
	v_fma_f32 v131, v15, v4, v131                              // 000000006A34: D1CB0083 060E090F
	v_mfma_f32_16x16x128_f8f6f4 v[12:15], a[120:127], a[56:63], 0// 000000006A3C: D3AD000C 1A027178
	ds_read_b128 a[8:11], v2 offset:512                        // 000000006A44: DBFE0200 08000002
	ds_read_b128 a[12:15], v2 offset:576                       // 000000006A4C: DBFE0240 0C000002
	s_nop 5                                                    // 000000006A54: BF800005
	v_fma_f32 v108, v8, v6, v108                               // 000000006A58: D1CB006C 05B20D08
	v_fma_f32 v109, v9, v6, v109                               // 000000006A60: D1CB006D 05B60D09
	v_fma_f32 v110, v10, v6, v110                              // 000000006A68: D1CB006E 05BA0D0A
	v_fma_f32 v111, v11, v6, v111                              // 000000006A70: D1CB006F 05BE0D0B
	v_mul_f32_dpp v4, v23, v44 row_newbcast:0 row_mask:0xf bank_mask:0xf// 000000006A78: 0A0858FA FF015017
	v_mfma_f32_16x16x128_f8f6f4 v[8:11], a[112:119], a[64:71], 0// 000000006A80: D3AD0008 1A028170
	buffer_load_dwordx4 a[104:107], v52, s[24:27], 0 offen     // 000000006A88: E05C1000 80866834
	s_nop 5                                                    // 000000006A90: BF800005
	v_fma_f32 v132, v12, v6, v132                              // 000000006A94: D1CB0084 06120D0C
	v_fma_f32 v133, v13, v6, v133                              // 000000006A9C: D1CB0085 06160D0D
	v_fma_f32 v134, v14, v6, v134                              // 000000006AA4: D1CB0086 061A0D0E
	v_fma_f32 v135, v15, v6, v135                              // 000000006AAC: D1CB0087 061E0D0F
	v_mfma_f32_16x16x128_f8f6f4 v[12:15], a[120:127], a[64:71], 0// 000000006AB4: D3AD000C 1A028178
	ds_read_b128 a[16:19], v2 offset:1024                      // 000000006ABC: DBFE0400 10000002
	ds_read_b128 a[20:23], v2 offset:1088                      // 000000006AC4: DBFE0440 14000002
	s_nop 5                                                    // 000000006ACC: BF800005
	v_fma_f32 v112, v8, v4, v112                               // 000000006AD0: D1CB0070 05C20908
	v_fma_f32 v113, v9, v4, v113                               // 000000006AD8: D1CB0071 05C60909
	v_fma_f32 v114, v10, v4, v114                              // 000000006AE0: D1CB0072 05CA090A
	v_fma_f32 v115, v11, v4, v115                              // 000000006AE8: D1CB0073 05CE090B
	v_mul_f32_dpp v6, v23, v45 row_newbcast:0 row_mask:0xf bank_mask:0xf// 000000006AF0: 0A0C5AFA FF015017
	v_mfma_f32_16x16x128_f8f6f4 v[8:11], a[112:119], a[72:79], 0// 000000006AF8: D3AD0008 1A029170
	buffer_load_dwordx4 a[108:111], v52, s[24:27], 0 offen offset:1024// 000000006B00: E05C1400 80866C34
	s_nop 5                                                    // 000000006B08: BF800005
	v_fma_f32 v136, v12, v4, v136                              // 000000006B0C: D1CB0088 0622090C
	v_fma_f32 v137, v13, v4, v137                              // 000000006B14: D1CB0089 0626090D
	v_fma_f32 v138, v14, v4, v138                              // 000000006B1C: D1CB008A 062A090E
	v_fma_f32 v139, v15, v4, v139                              // 000000006B24: D1CB008B 062E090F
	v_mfma_f32_16x16x128_f8f6f4 v[12:15], a[120:127], a[72:79], 0// 000000006B2C: D3AD000C 1A029178
	ds_read_b128 a[24:27], v2 offset:1536                      // 000000006B34: DBFE0600 18000002
	ds_read_b128 a[28:31], v2 offset:1600                      // 000000006B3C: DBFE0640 1C000002
	s_add_u32 s52, 0x100, s70                                  // 000000006B44: 803446FF 00000100
	s_cmp_lt_u32 s52, s71                                      // 000000006B4C: BF0A4734
	s_cselect_b32 s58, s58, 0                                  // 000000006B50: 853A803A
	s_nop 5                                                    // 000000006B54: BF800005
	v_fma_f32 v116, v8, v6, v116                               // 000000006B58: D1CB0074 05D20D08
	v_fma_f32 v117, v9, v6, v117                               // 000000006B60: D1CB0075 05D60D09
	v_fma_f32 v118, v10, v6, v118                              // 000000006B68: D1CB0076 05DA0D0A
	v_fma_f32 v119, v11, v6, v119                              // 000000006B70: D1CB0077 05DE0D0B
	v_mul_f32_dpp v4, v23, v46 row_newbcast:0 row_mask:0xf bank_mask:0xf// 000000006B78: 0A085CFA FF015017
	v_mfma_f32_16x16x128_f8f6f4 v[8:11], a[112:119], a[80:87], 0// 000000006B80: D3AD0008 1A02A170
	s_add_u32 s76, s73, s24                                    // 000000006B88: 804C1849
	s_addc_u32 s77, 0, s77                                     // 000000006B8C: 824D4D80
	s_nop 5                                                    // 000000006B90: BF800005
	v_fma_f32 v140, v12, v6, v140                              // 000000006B94: D1CB008C 06320D0C
	v_fma_f32 v141, v13, v6, v141                              // 000000006B9C: D1CB008D 06360D0D
	v_fma_f32 v142, v14, v6, v142                              // 000000006BA4: D1CB008E 063A0D0E
	v_fma_f32 v143, v15, v6, v143                              // 000000006BAC: D1CB008F 063E0D0F
	v_mfma_f32_16x16x128_f8f6f4 v[12:15], a[120:127], a[80:87], 0// 000000006BB4: D3AD000C 1A02A178
	ds_read_b128 a[32:35], v2 offset:2048                      // 000000006BBC: DBFE0800 20000002
	ds_read_b128 a[36:39], v2 offset:2112                      // 000000006BC4: DBFE0840 24000002
	s_add_u32 s52, 0x180, s70                                  // 000000006BCC: 803446FF 00000180
	s_cmp_lt_u32 s52, s71                                      // 000000006BD4: BF0A4734
	s_cselect_b32 s57, s57, 0                                  // 000000006BD8: 85398039
	s_cselect_b32 s6, s6, 0                                    // 000000006BDC: 85068006
	s_nop 5                                                    // 000000006BE0: BF800005
	v_fma_f32 v120, v8, v4, v120                               // 000000006BE4: D1CB0078 05E20908
	v_fma_f32 v121, v9, v4, v121                               // 000000006BEC: D1CB0079 05E60909
	v_fma_f32 v122, v10, v4, v122                              // 000000006BF4: D1CB007A 05EA090A
	v_fma_f32 v123, v11, v4, v123                              // 000000006BFC: D1CB007B 05EE090B
	v_mul_f32_dpp v6, v23, v47 row_newbcast:0 row_mask:0xf bank_mask:0xf// 000000006C04: 0A0C5EFA FF015017
	v_mfma_f32_16x16x128_f8f6f4 v[8:11], a[112:119], a[88:95], 0// 000000006C0C: D3AD0008 1A02B170
	s_add_u32 s20, s57, s20                                    // 000000006C14: 80141439
	s_addc_u32 s21, 0, s21                                     // 000000006C18: 82151580
	s_add_u32 s28, s6, s28                                     // 000000006C1C: 801C1C06
	s_addc_u32 s29, 0, s29                                     // 000000006C20: 821D1D80
	s_nop 5                                                    // 000000006C24: BF800005
	v_fma_f32 v144, v12, v4, v144                              // 000000006C28: D1CB0090 0642090C
	v_fma_f32 v145, v13, v4, v145                              // 000000006C30: D1CB0091 0646090D
	v_fma_f32 v146, v14, v4, v146                              // 000000006C38: D1CB0092 064A090E
	v_fma_f32 v147, v15, v4, v147                              // 000000006C40: D1CB0093 064E090F
	v_mfma_f32_16x16x128_f8f6f4 v[12:15], a[120:127], a[88:95], 0// 000000006C48: D3AD000C 1A02B178
	ds_read_b128 a[40:43], v2 offset:2560                      // 000000006C50: DBFE0A00 28000002
	ds_read_b128 a[44:47], v2 offset:2624                      // 000000006C58: DBFE0A40 2C000002
	s_add_u32 s24, s58, s24                                    // 000000006C60: 8018183A
	s_addc_u32 s25, 0, s25                                     // 000000006C64: 82191980
	s_nop 5                                                    // 000000006C68: BF800005
	v_fma_f32 v124, v8, v6, v124                               // 000000006C6C: D1CB007C 05F20D08
	v_fma_f32 v125, v9, v6, v125                               // 000000006C74: D1CB007D 05F60D09
	v_fma_f32 v126, v10, v6, v126                              // 000000006C7C: D1CB007E 05FA0D0A
	v_fma_f32 v127, v11, v6, v127                              // 000000006C84: D1CB007F 05FE0D0B
	s_nop 5                                                    // 000000006C8C: BF800005
	v_fma_f32 v148, v12, v6, v148                              // 000000006C90: D1CB0094 06520D0C
	v_fma_f32 v149, v13, v6, v149                              // 000000006C98: D1CB0095 06560D0D
	v_fma_f32 v150, v14, v6, v150                              // 000000006CA0: D1CB0096 065A0D0E
	v_fma_f32 v151, v15, v6, v151                              // 000000006CA8: D1CB0097 065E0D0F
	s_addk_i32 s70, 0x80                                       // 000000006CB0: B7460080
	s_cmp_lt_i32 s70, s71                                      // 000000006CB4: BF044746
	s_cbranch_scc0 label_10F3                                  // 000000006CB8: BF840001
	s_branch label_0DCA                                        // 000000006CBC: BF82FCD7

0000000000006cc0 <label_10F3>:
	s_cmp_eq_u32 s74, 0                                        // 000000006CC0: BF06804A
	s_cbranch_scc0 label_141D                                  // 000000006CC4: BF840328
	v_cvt_pk_bf16_f32 v56, v56, v57                            // 000000006CC8: D2680038 00027338
	v_cvt_pk_bf16_f32 v57, v58, v59                            // 000000006CD0: D2680039 0002773A
	v_cvt_pk_bf16_f32 v58, v60, v61                            // 000000006CD8: D268003A 00027B3C
	v_cvt_pk_bf16_f32 v59, v62, v63                            // 000000006CE0: D268003B 00027F3E
	v_cvt_pk_bf16_f32 v60, v64, v65                            // 000000006CE8: D268003C 00028340
	v_cvt_pk_bf16_f32 v61, v66, v67                            // 000000006CF0: D268003D 00028742
	v_cvt_pk_bf16_f32 v62, v68, v69                            // 000000006CF8: D268003E 00028B44
	v_cvt_pk_bf16_f32 v63, v70, v71                            // 000000006D00: D268003F 00028F46
	v_cvt_pk_bf16_f32 v64, v72, v73                            // 000000006D08: D2680040 00029348
	v_cvt_pk_bf16_f32 v65, v74, v75                            // 000000006D10: D2680041 0002974A
	v_cvt_pk_bf16_f32 v66, v76, v77                            // 000000006D18: D2680042 00029B4C
	v_cvt_pk_bf16_f32 v67, v78, v79                            // 000000006D20: D2680043 00029F4E
	v_cvt_pk_bf16_f32 v68, v80, v81                            // 000000006D28: D2680044 0002A350
	v_cvt_pk_bf16_f32 v69, v82, v83                            // 000000006D30: D2680045 0002A752
	v_cvt_pk_bf16_f32 v70, v84, v85                            // 000000006D38: D2680046 0002AB54
	v_cvt_pk_bf16_f32 v71, v86, v87                            // 000000006D40: D2680047 0002AF56
	v_cvt_pk_bf16_f32 v72, v88, v89                            // 000000006D48: D2680048 0002B358
	v_cvt_pk_bf16_f32 v73, v90, v91                            // 000000006D50: D2680049 0002B75A
	v_cvt_pk_bf16_f32 v74, v92, v93                            // 000000006D58: D268004A 0002BB5C
	v_cvt_pk_bf16_f32 v75, v94, v95                            // 000000006D60: D268004B 0002BF5E
	v_cvt_pk_bf16_f32 v76, v96, v97                            // 000000006D68: D268004C 0002C360
	v_cvt_pk_bf16_f32 v77, v98, v99                            // 000000006D70: D268004D 0002C762
	v_cvt_pk_bf16_f32 v78, v100, v101                          // 000000006D78: D268004E 0002CB64
	v_cvt_pk_bf16_f32 v79, v102, v103                          // 000000006D80: D268004F 0002CF66
	ds_write_b64 v16, v[56:57]                                 // 000000006D88: D89A0000 00003810
	ds_write_b64 v16, v[58:59] offset:4352                     // 000000006D90: D89A1100 00003A10
	ds_write_b64 v16, v[60:61] offset:8704                     // 000000006D98: D89A2200 00003C10
	ds_write_b64 v16, v[62:63] offset:13056                    // 000000006DA0: D89A3300 00003E10
	ds_write_b64 v16, v[64:65] offset:17408                    // 000000006DA8: D89A4400 00004010
	ds_write_b64 v16, v[66:67] offset:21760                    // 000000006DB0: D89A5500 00004210
	ds_write_b64 v16, v[68:69] offset:2176                     // 000000006DB8: D89A0880 00004410
	ds_write_b64 v16, v[70:71] offset:6528                     // 000000006DC0: D89A1980 00004610
	ds_write_b64 v16, v[72:73] offset:10880                    // 000000006DC8: D89A2A80 00004810
	ds_write_b64 v16, v[74:75] offset:15232                    // 000000006DD0: D89A3B80 00004A10
	ds_write_b64 v16, v[76:77] offset:19584                    // 000000006DD8: D89A4C80 00004C10
	ds_write_b64 v16, v[78:79] offset:23936                    // 000000006DE0: D89A5D80 00004E10
	v_cvt_pk_bf16_f32 v104, v104, v105                         // 000000006DE8: D2680068 0002D368
	v_cvt_pk_bf16_f32 v105, v106, v107                         // 000000006DF0: D2680069 0002D76A
	v_cvt_pk_bf16_f32 v106, v108, v109                         // 000000006DF8: D268006A 0002DB6C
	v_cvt_pk_bf16_f32 v107, v110, v111                         // 000000006E00: D268006B 0002DF6E
	v_cvt_pk_bf16_f32 v108, v112, v113                         // 000000006E08: D268006C 0002E370
	v_cvt_pk_bf16_f32 v109, v114, v115                         // 000000006E10: D268006D 0002E772
	v_cvt_pk_bf16_f32 v110, v116, v117                         // 000000006E18: D268006E 0002EB74
	v_cvt_pk_bf16_f32 v111, v118, v119                         // 000000006E20: D268006F 0002EF76
	v_cvt_pk_bf16_f32 v112, v120, v121                         // 000000006E28: D2680070 0002F378
	v_cvt_pk_bf16_f32 v113, v122, v123                         // 000000006E30: D2680071 0002F77A
	v_cvt_pk_bf16_f32 v114, v124, v125                         // 000000006E38: D2680072 0002FB7C
	v_cvt_pk_bf16_f32 v115, v126, v127                         // 000000006E40: D2680073 0002FF7E
	v_cvt_pk_bf16_f32 v116, v128, v129                         // 000000006E48: D2680074 00030380
	v_cvt_pk_bf16_f32 v117, v130, v131                         // 000000006E50: D2680075 00030782
	v_cvt_pk_bf16_f32 v118, v132, v133                         // 000000006E58: D2680076 00030B84
	v_cvt_pk_bf16_f32 v119, v134, v135                         // 000000006E60: D2680077 00030F86
	v_cvt_pk_bf16_f32 v120, v136, v137                         // 000000006E68: D2680078 00031388
	v_cvt_pk_bf16_f32 v121, v138, v139                         // 000000006E70: D2680079 0003178A
	v_cvt_pk_bf16_f32 v122, v140, v141                         // 000000006E78: D268007A 00031B8C
	v_cvt_pk_bf16_f32 v123, v142, v143                         // 000000006E80: D268007B 00031F8E
	v_cvt_pk_bf16_f32 v124, v144, v145                         // 000000006E88: D268007C 00032390
	v_cvt_pk_bf16_f32 v125, v146, v147                         // 000000006E90: D268007D 00032792
	v_cvt_pk_bf16_f32 v126, v148, v149                         // 000000006E98: D268007E 00032B94
	v_cvt_pk_bf16_f32 v127, v150, v151                         // 000000006EA0: D268007F 00032F96
	v_lshrrev_b32_e32 v4, 5, v0                                // 000000006EA8: 20080085
	v_xor_b32_e32 v5, 1, v4                                    // 000000006EAC: 2A0A0881
	s_mul_i32 s52, s61, 2                                      // 000000006EB0: 9234823D
	s_cmp_eq_u32 s74, 0                                        // 000000006EB4: BF06804A
	s_cselect_b32 s53, 1, 4                                    // 000000006EB8: 85358481
	s_mul_i32 s52, s53, s52                                    // 000000006EBC: 92343435
	v_readlane_b32 s72, v3, 0                                  // 000000006EC0: D2890048 00010103
	s_mul_i32 s72, s72, s66                                    // 000000006EC8: 92484248
	v_mul_lo_u32 v6, v5, s72                                   // 000000006ECC: D2850006 00009105
	v_readlane_b32 s72, v3, 1                                  // 000000006ED4: D2890048 00010303
	s_mul_i32 s72, s72, s66                                    // 000000006EDC: 92484248
	v_mul_lo_u32 v7, v4, s72                                   // 000000006EE0: D2850007 00009104
	v_add_u32_e32 v80, v6, v7                                  // 000000006EE8: 68A00F06
	v_readlane_b32 s72, v3, 2                                  // 000000006EEC: D2890048 00010503
	s_mul_i32 s72, s72, s66                                    // 000000006EF4: 92484248
	v_mul_lo_u32 v6, v5, s72                                   // 000000006EF8: D2850006 00009105
	v_readlane_b32 s72, v3, 3                                  // 000000006F00: D2890048 00010703
	s_mul_i32 s72, s72, s66                                    // 000000006F08: 92484248
	v_mul_lo_u32 v7, v4, s72                                   // 000000006F0C: D2850007 00009104
	v_add_u32_e32 v81, v6, v7                                  // 000000006F14: 68A20F06
	v_readlane_b32 s72, v3, 4                                  // 000000006F18: D2890048 00010903
	s_mul_i32 s72, s72, s66                                    // 000000006F20: 92484248
	v_mul_lo_u32 v6, v5, s72                                   // 000000006F24: D2850006 00009105
	v_readlane_b32 s72, v3, 5                                  // 000000006F2C: D2890048 00010B03
	s_mul_i32 s72, s72, s66                                    // 000000006F34: 92484248
	v_mul_lo_u32 v7, v4, s72                                   // 000000006F38: D2850007 00009104
	v_add_u32_e32 v82, v6, v7                                  // 000000006F40: 68A40F06
	v_readlane_b32 s72, v3, 6                                  // 000000006F44: D2890048 00010D03
	s_mul_i32 s72, s72, s66                                    // 000000006F4C: 92484248
	v_mul_lo_u32 v6, v5, s72                                   // 000000006F50: D2850006 00009105
	v_readlane_b32 s72, v3, 7                                  // 000000006F58: D2890048 00010F03
	s_mul_i32 s72, s72, s66                                    // 000000006F60: 92484248
	v_mul_lo_u32 v7, v4, s72                                   // 000000006F64: D2850007 00009104
	v_add_u32_e32 v83, v6, v7                                  // 000000006F6C: 68A60F06
	v_readlane_b32 s72, v3, 8                                  // 000000006F70: D2890048 00011103
	s_mul_i32 s72, s72, s66                                    // 000000006F78: 92484248
	v_mul_lo_u32 v6, v5, s72                                   // 000000006F7C: D2850006 00009105
	v_readlane_b32 s72, v3, 9                                  // 000000006F84: D2890048 00011303
	s_mul_i32 s72, s72, s66                                    // 000000006F8C: 92484248
	v_mul_lo_u32 v7, v4, s72                                   // 000000006F90: D2850007 00009104
	v_add_u32_e32 v84, v6, v7                                  // 000000006F98: 68A80F06
	v_readlane_b32 s72, v3, 10                                 // 000000006F9C: D2890048 00011503
	s_mul_i32 s72, s72, s66                                    // 000000006FA4: 92484248
	v_mul_lo_u32 v6, v5, s72                                   // 000000006FA8: D2850006 00009105
	v_readlane_b32 s72, v3, 11                                 // 000000006FB0: D2890048 00011703
	s_mul_i32 s72, s72, s66                                    // 000000006FB8: 92484248
	v_mul_lo_u32 v7, v4, s72                                   // 000000006FBC: D2850007 00009104
	v_add_u32_e32 v85, v6, v7                                  // 000000006FC4: 68AA0F06
	v_readlane_b32 s72, v3, 12                                 // 000000006FC8: D2890048 00011903
	s_mul_i32 s72, s72, s66                                    // 000000006FD0: 92484248
	v_mul_lo_u32 v6, v5, s72                                   // 000000006FD4: D2850006 00009105
	v_readlane_b32 s72, v3, 13                                 // 000000006FDC: D2890048 00011B03
	s_mul_i32 s72, s72, s66                                    // 000000006FE4: 92484248
	v_mul_lo_u32 v7, v4, s72                                   // 000000006FE8: D2850007 00009104
	v_add_u32_e32 v86, v6, v7                                  // 000000006FF0: 68AC0F06
	v_readlane_b32 s72, v3, 14                                 // 000000006FF4: D2890048 00011D03
	s_mul_i32 s72, s72, s66                                    // 000000006FFC: 92484248
	v_mul_lo_u32 v6, v5, s72                                   // 000000007000: D2850006 00009105
	v_readlane_b32 s72, v3, 15                                 // 000000007008: D2890048 00011F03
	s_mul_i32 s72, s72, s66                                    // 000000007010: 92484248
	v_mul_lo_u32 v7, v4, s72                                   // 000000007014: D2850007 00009104
	v_add_u32_e32 v87, v6, v7                                  // 00000000701C: 68AE0F06
	v_readlane_b32 s72, v3, 16                                 // 000000007020: D2890048 00012103
	s_mul_i32 s72, s72, s66                                    // 000000007028: 92484248
	v_mul_lo_u32 v6, v5, s72                                   // 00000000702C: D2850006 00009105
	v_readlane_b32 s72, v3, 17                                 // 000000007034: D2890048 00012303
	s_mul_i32 s72, s72, s66                                    // 00000000703C: 92484248
	v_mul_lo_u32 v7, v4, s72                                   // 000000007040: D2850007 00009104
	v_add_u32_e32 v88, v6, v7                                  // 000000007048: 68B00F06
	v_readlane_b32 s72, v3, 18                                 // 00000000704C: D2890048 00012503
	s_mul_i32 s72, s72, s66                                    // 000000007054: 92484248
	v_mul_lo_u32 v6, v5, s72                                   // 000000007058: D2850006 00009105
	v_readlane_b32 s72, v3, 19                                 // 000000007060: D2890048 00012703
	s_mul_i32 s72, s72, s66                                    // 000000007068: 92484248
	v_mul_lo_u32 v7, v4, s72                                   // 00000000706C: D2850007 00009104
	v_add_u32_e32 v89, v6, v7                                  // 000000007074: 68B20F06
	v_readlane_b32 s72, v3, 20                                 // 000000007078: D2890048 00012903
	s_mul_i32 s72, s72, s66                                    // 000000007080: 92484248
	v_mul_lo_u32 v6, v5, s72                                   // 000000007084: D2850006 00009105
	v_readlane_b32 s72, v3, 21                                 // 00000000708C: D2890048 00012B03
	s_mul_i32 s72, s72, s66                                    // 000000007094: 92484248
	v_mul_lo_u32 v7, v4, s72                                   // 000000007098: D2850007 00009104
	v_add_u32_e32 v90, v6, v7                                  // 0000000070A0: 68B40F06
	v_readlane_b32 s72, v3, 22                                 // 0000000070A4: D2890048 00012D03
	s_mul_i32 s72, s72, s66                                    // 0000000070AC: 92484248
	v_mul_lo_u32 v6, v5, s72                                   // 0000000070B0: D2850006 00009105
	v_readlane_b32 s72, v3, 23                                 // 0000000070B8: D2890048 00012F03
	s_mul_i32 s72, s72, s66                                    // 0000000070C0: 92484248
	v_mul_lo_u32 v7, v4, s72                                   // 0000000070C4: D2850007 00009104
	v_add_u32_e32 v91, v6, v7                                  // 0000000070CC: 68B60F06
	v_and_b32_e32 v4, 31, v0                                   // 0000000070D0: 2608009F
	v_lshrrev_b32_e32 v4, 1, v4                                // 0000000070D4: 20080881
	s_cmp_eq_u32 s74, 0                                        // 0000000070D8: BF06804A
	s_cselect_b32 s53, 2, 4                                    // 0000000070DC: 85358482
	v_mul_lo_u32 v4, v4, s53                                   // 0000000070E0: D2850004 00006B04
	v_and_b32_e64 v5, v0, 1                                    // 0000000070E8: D1130005 00010300
	v_add_u32_e32 v4, v4, v5                                   // 0000000070F0: 68080B04
	v_lshlrev_b32_e32 v4, 2, v4                                // 0000000070F4: 24080882
	v_add_u32_e32 v80, v80, v4                                 // 0000000070F8: 68A00950
	v_add_u32_e32 v81, v81, v4                                 // 0000000070FC: 68A20951
	v_add_u32_e32 v82, v82, v4                                 // 000000007100: 68A40952
	v_add_u32_e32 v83, v83, v4                                 // 000000007104: 68A60953
	v_add_u32_e32 v84, v84, v4                                 // 000000007108: 68A80954
	v_add_u32_e32 v85, v85, v4                                 // 00000000710C: 68AA0955
	v_add_u32_e32 v86, v86, v4                                 // 000000007110: 68AC0956
	v_add_u32_e32 v87, v87, v4                                 // 000000007114: 68AE0957
	v_add_u32_e32 v88, v88, v4                                 // 000000007118: 68B00958
	v_add_u32_e32 v89, v89, v4                                 // 00000000711C: 68B20959
	v_add_u32_e32 v90, v90, v4                                 // 000000007120: 68B4095A
	v_add_u32_e32 v91, v91, v4                                 // 000000007124: 68B6095B
	s_waitcnt lgkmcnt(0)                                       // 000000007128: BF8CC07F
	s_barrier                                                  // 00000000712C: BF8A0000
	ds_read_b32 v56, v17                                       // 000000007130: D86C0000 38000011
	ds_read_b32 v57, v17 offset:64                             // 000000007138: D86C0040 39000011
	ds_read_b32 v58, v17 offset:2176                           // 000000007140: D86C0880 3A000011
	ds_read_b32 v59, v17 offset:2240                           // 000000007148: D86C08C0 3B000011
	ds_read_b32 v60, v17 offset:4352                           // 000000007150: D86C1100 3C000011
	ds_read_b32 v61, v17 offset:4416                           // 000000007158: D86C1140 3D000011
	ds_read_b32 v62, v17 offset:6528                           // 000000007160: D86C1980 3E000011
	ds_read_b32 v63, v17 offset:6592                           // 000000007168: D86C19C0 3F000011
	ds_read_b32 v64, v17 offset:8704                           // 000000007170: D86C2200 40000011
	ds_read_b32 v65, v17 offset:8768                           // 000000007178: D86C2240 41000011
	ds_read_b32 v66, v17 offset:10880                          // 000000007180: D86C2A80 42000011
	ds_read_b32 v67, v17 offset:10944                          // 000000007188: D86C2AC0 43000011
	ds_read_b32 v68, v17 offset:13056                          // 000000007190: D86C3300 44000011
	ds_read_b32 v69, v17 offset:13120                          // 000000007198: D86C3340 45000011
	ds_read_b32 v70, v17 offset:15232                          // 0000000071A0: D86C3B80 46000011
	ds_read_b32 v71, v17 offset:15296                          // 0000000071A8: D86C3BC0 47000011
	ds_read_b32 v72, v17 offset:17408                          // 0000000071B0: D86C4400 48000011
	ds_read_b32 v73, v17 offset:17472                          // 0000000071B8: D86C4440 49000011
	ds_read_b32 v74, v17 offset:19584                          // 0000000071C0: D86C4C80 4A000011
	ds_read_b32 v75, v17 offset:19648                          // 0000000071C8: D86C4CC0 4B000011
	ds_read_b32 v76, v17 offset:21760                          // 0000000071D0: D86C5500 4C000011
	ds_read_b32 v77, v17 offset:21824                          // 0000000071D8: D86C5540 4D000011
	ds_read_b32 v78, v17 offset:23936                          // 0000000071E0: D86C5D80 4E000011
	ds_read_b32 v79, v17 offset:24000                          // 0000000071E8: D86C5DC0 4F000011
	s_waitcnt lgkmcnt(0)                                       // 0000000071F0: BF8CC07F
	s_mov_b32 s16, -1                                          // 0000000071F4: BE9000C1
	s_mov_b32 s17, -1                                          // 0000000071F8: BE9100C1
	v_mov_b32_e32 v7, 0                                        // 0000000071FC: 7E0E0280
	s_or_b32 s9, s9, 0x40000                                   // 000000007200: 8709FF09 00040000
	s_mov_b64 exec, s[16:17]                                   // 000000007208: BEFE0110
	v_mov_b32_e32 v6, v80                                      // 00000000720C: 7E0C0350
	s_mov_b64 s[52:53], 0                                      // 000000007210: BEB40180
	v_readlane_b32 s72, v3, 0                                  // 000000007214: D2890048 00010103
	s_cmp_lt_u32 s72, s62                                      // 00000000721C: BF0A3E48
	s_cselect_b32 s20, s16, s52                                // 000000007220: 85143410
	v_readlane_b32 s72, v3, 1                                  // 000000007224: D2890048 00010303
	s_cmp_lt_u32 s72, s62                                      // 00000000722C: BF0A3E48
	s_cselect_b32 s21, s16, s52                                // 000000007230: 85153410
	s_mov_b64 exec, s[20:21]                                   // 000000007234: BEFE0114
	buffer_store_dword v56, v6, s[8:11], 0 offen               // 000000007238: E0701000 80023806
	buffer_store_dword v58, v6, s[8:11], 0 offen offset:128    // 000000007240: E0701080 80023A06
	s_mov_b64 exec, s[16:17]                                   // 000000007248: BEFE0110
	v_mov_b32_e32 v6, v81                                      // 00000000724C: 7E0C0351
	s_mov_b64 s[52:53], 0                                      // 000000007250: BEB40180
	v_readlane_b32 s72, v3, 2                                  // 000000007254: D2890048 00010503
	s_cmp_lt_u32 s72, s62                                      // 00000000725C: BF0A3E48
	s_cselect_b32 s20, s16, s52                                // 000000007260: 85143410
	v_readlane_b32 s72, v3, 3                                  // 000000007264: D2890048 00010703
	s_cmp_lt_u32 s72, s62                                      // 00000000726C: BF0A3E48
	s_cselect_b32 s21, s16, s52                                // 000000007270: 85153410
	s_mov_b64 exec, s[20:21]                                   // 000000007274: BEFE0114
	buffer_store_dword v57, v6, s[8:11], 0 offen               // 000000007278: E0701000 80023906
	buffer_store_dword v59, v6, s[8:11], 0 offen offset:128    // 000000007280: E0701080 80023B06
	s_mov_b64 exec, s[16:17]                                   // 000000007288: BEFE0110
	v_mov_b32_e32 v6, v82                                      // 00000000728C: 7E0C0352
	s_mov_b64 s[52:53], 0                                      // 000000007290: BEB40180
	v_readlane_b32 s72, v3, 4                                  // 000000007294: D2890048 00010903
	s_cmp_lt_u32 s72, s62                                      // 00000000729C: BF0A3E48
	s_cselect_b32 s20, s16, s52                                // 0000000072A0: 85143410
	v_readlane_b32 s72, v3, 5                                  // 0000000072A4: D2890048 00010B03
	s_cmp_lt_u32 s72, s62                                      // 0000000072AC: BF0A3E48
	s_cselect_b32 s21, s16, s52                                // 0000000072B0: 85153410
	s_mov_b64 exec, s[20:21]                                   // 0000000072B4: BEFE0114
	buffer_store_dword v60, v6, s[8:11], 0 offen               // 0000000072B8: E0701000 80023C06
	buffer_store_dword v62, v6, s[8:11], 0 offen offset:128    // 0000000072C0: E0701080 80023E06
	s_mov_b64 exec, s[16:17]                                   // 0000000072C8: BEFE0110
	v_mov_b32_e32 v6, v83                                      // 0000000072CC: 7E0C0353
	s_mov_b64 s[52:53], 0                                      // 0000000072D0: BEB40180
	v_readlane_b32 s72, v3, 6                                  // 0000000072D4: D2890048 00010D03
	s_cmp_lt_u32 s72, s62                                      // 0000000072DC: BF0A3E48
	s_cselect_b32 s20, s16, s52                                // 0000000072E0: 85143410
	v_readlane_b32 s72, v3, 7                                  // 0000000072E4: D2890048 00010F03
	s_cmp_lt_u32 s72, s62                                      // 0000000072EC: BF0A3E48
	s_cselect_b32 s21, s16, s52                                // 0000000072F0: 85153410
	s_mov_b64 exec, s[20:21]                                   // 0000000072F4: BEFE0114
	buffer_store_dword v61, v6, s[8:11], 0 offen               // 0000000072F8: E0701000 80023D06
	buffer_store_dword v63, v6, s[8:11], 0 offen offset:128    // 000000007300: E0701080 80023F06
	s_mov_b64 exec, s[16:17]                                   // 000000007308: BEFE0110
	v_mov_b32_e32 v6, v84                                      // 00000000730C: 7E0C0354
	s_mov_b64 s[52:53], 0                                      // 000000007310: BEB40180
	v_readlane_b32 s72, v3, 8                                  // 000000007314: D2890048 00011103
	s_cmp_lt_u32 s72, s62                                      // 00000000731C: BF0A3E48
	s_cselect_b32 s20, s16, s52                                // 000000007320: 85143410
	v_readlane_b32 s72, v3, 9                                  // 000000007324: D2890048 00011303
	s_cmp_lt_u32 s72, s62                                      // 00000000732C: BF0A3E48
	s_cselect_b32 s21, s16, s52                                // 000000007330: 85153410
	s_mov_b64 exec, s[20:21]                                   // 000000007334: BEFE0114
	buffer_store_dword v64, v6, s[8:11], 0 offen               // 000000007338: E0701000 80024006
	buffer_store_dword v66, v6, s[8:11], 0 offen offset:128    // 000000007340: E0701080 80024206
	s_mov_b64 exec, s[16:17]                                   // 000000007348: BEFE0110
	v_mov_b32_e32 v6, v85                                      // 00000000734C: 7E0C0355
	s_mov_b64 s[52:53], 0                                      // 000000007350: BEB40180
	v_readlane_b32 s72, v3, 10                                 // 000000007354: D2890048 00011503
	s_cmp_lt_u32 s72, s62                                      // 00000000735C: BF0A3E48
	s_cselect_b32 s20, s16, s52                                // 000000007360: 85143410
	v_readlane_b32 s72, v3, 11                                 // 000000007364: D2890048 00011703
	s_cmp_lt_u32 s72, s62                                      // 00000000736C: BF0A3E48
	s_cselect_b32 s21, s16, s52                                // 000000007370: 85153410
	s_mov_b64 exec, s[20:21]                                   // 000000007374: BEFE0114
	buffer_store_dword v65, v6, s[8:11], 0 offen               // 000000007378: E0701000 80024106
	buffer_store_dword v67, v6, s[8:11], 0 offen offset:128    // 000000007380: E0701080 80024306
	s_mov_b64 exec, s[16:17]                                   // 000000007388: BEFE0110
	v_mov_b32_e32 v6, v86                                      // 00000000738C: 7E0C0356
	s_mov_b64 s[52:53], 0                                      // 000000007390: BEB40180
	v_readlane_b32 s72, v3, 12                                 // 000000007394: D2890048 00011903
	s_cmp_lt_u32 s72, s62                                      // 00000000739C: BF0A3E48
	s_cselect_b32 s20, s16, s52                                // 0000000073A0: 85143410
	v_readlane_b32 s72, v3, 13                                 // 0000000073A4: D2890048 00011B03
	s_cmp_lt_u32 s72, s62                                      // 0000000073AC: BF0A3E48
	s_cselect_b32 s21, s16, s52                                // 0000000073B0: 85153410
	s_mov_b64 exec, s[20:21]                                   // 0000000073B4: BEFE0114
	buffer_store_dword v68, v6, s[8:11], 0 offen               // 0000000073B8: E0701000 80024406
	buffer_store_dword v70, v6, s[8:11], 0 offen offset:128    // 0000000073C0: E0701080 80024606
	s_mov_b64 exec, s[16:17]                                   // 0000000073C8: BEFE0110
	v_mov_b32_e32 v6, v87                                      // 0000000073CC: 7E0C0357
	s_mov_b64 s[52:53], 0                                      // 0000000073D0: BEB40180
	v_readlane_b32 s72, v3, 14                                 // 0000000073D4: D2890048 00011D03
	s_cmp_lt_u32 s72, s62                                      // 0000000073DC: BF0A3E48
	s_cselect_b32 s20, s16, s52                                // 0000000073E0: 85143410
	v_readlane_b32 s72, v3, 15                                 // 0000000073E4: D2890048 00011F03
	s_cmp_lt_u32 s72, s62                                      // 0000000073EC: BF0A3E48
	s_cselect_b32 s21, s16, s52                                // 0000000073F0: 85153410
	s_mov_b64 exec, s[20:21]                                   // 0000000073F4: BEFE0114
	buffer_store_dword v69, v6, s[8:11], 0 offen               // 0000000073F8: E0701000 80024506
	buffer_store_dword v71, v6, s[8:11], 0 offen offset:128    // 000000007400: E0701080 80024706
	s_mov_b64 exec, s[16:17]                                   // 000000007408: BEFE0110
	v_mov_b32_e32 v6, v88                                      // 00000000740C: 7E0C0358
	s_mov_b64 s[52:53], 0                                      // 000000007410: BEB40180
	v_readlane_b32 s72, v3, 16                                 // 000000007414: D2890048 00012103
	s_cmp_lt_u32 s72, s62                                      // 00000000741C: BF0A3E48
	s_cselect_b32 s20, s16, s52                                // 000000007420: 85143410
	v_readlane_b32 s72, v3, 17                                 // 000000007424: D2890048 00012303
	s_cmp_lt_u32 s72, s62                                      // 00000000742C: BF0A3E48
	s_cselect_b32 s21, s16, s52                                // 000000007430: 85153410
	s_mov_b64 exec, s[20:21]                                   // 000000007434: BEFE0114
	buffer_store_dword v72, v6, s[8:11], 0 offen               // 000000007438: E0701000 80024806
	buffer_store_dword v74, v6, s[8:11], 0 offen offset:128    // 000000007440: E0701080 80024A06
	s_mov_b64 exec, s[16:17]                                   // 000000007448: BEFE0110
	v_mov_b32_e32 v6, v89                                      // 00000000744C: 7E0C0359
	s_mov_b64 s[52:53], 0                                      // 000000007450: BEB40180
	v_readlane_b32 s72, v3, 18                                 // 000000007454: D2890048 00012503
	s_cmp_lt_u32 s72, s62                                      // 00000000745C: BF0A3E48
	s_cselect_b32 s20, s16, s52                                // 000000007460: 85143410
	v_readlane_b32 s72, v3, 19                                 // 000000007464: D2890048 00012703
	s_cmp_lt_u32 s72, s62                                      // 00000000746C: BF0A3E48
	s_cselect_b32 s21, s16, s52                                // 000000007470: 85153410
	s_mov_b64 exec, s[20:21]                                   // 000000007474: BEFE0114
	buffer_store_dword v73, v6, s[8:11], 0 offen               // 000000007478: E0701000 80024906
	buffer_store_dword v75, v6, s[8:11], 0 offen offset:128    // 000000007480: E0701080 80024B06
	s_mov_b64 exec, s[16:17]                                   // 000000007488: BEFE0110
	v_mov_b32_e32 v6, v90                                      // 00000000748C: 7E0C035A
	s_mov_b64 s[52:53], 0                                      // 000000007490: BEB40180
	v_readlane_b32 s72, v3, 20                                 // 000000007494: D2890048 00012903
	s_cmp_lt_u32 s72, s62                                      // 00000000749C: BF0A3E48
	s_cselect_b32 s20, s16, s52                                // 0000000074A0: 85143410
	v_readlane_b32 s72, v3, 21                                 // 0000000074A4: D2890048 00012B03
	s_cmp_lt_u32 s72, s62                                      // 0000000074AC: BF0A3E48
	s_cselect_b32 s21, s16, s52                                // 0000000074B0: 85153410
	s_mov_b64 exec, s[20:21]                                   // 0000000074B4: BEFE0114
	buffer_store_dword v76, v6, s[8:11], 0 offen               // 0000000074B8: E0701000 80024C06
	buffer_store_dword v78, v6, s[8:11], 0 offen offset:128    // 0000000074C0: E0701080 80024E06
	s_mov_b64 exec, s[16:17]                                   // 0000000074C8: BEFE0110
	v_mov_b32_e32 v6, v91                                      // 0000000074CC: 7E0C035B
	s_mov_b64 s[52:53], 0                                      // 0000000074D0: BEB40180
	v_readlane_b32 s72, v3, 22                                 // 0000000074D4: D2890048 00012D03
	s_cmp_lt_u32 s72, s62                                      // 0000000074DC: BF0A3E48
	s_cselect_b32 s20, s16, s52                                // 0000000074E0: 85143410
	v_readlane_b32 s72, v3, 23                                 // 0000000074E4: D2890048 00012F03
	s_cmp_lt_u32 s72, s62                                      // 0000000074EC: BF0A3E48
	s_cselect_b32 s21, s16, s52                                // 0000000074F0: 85153410
	s_mov_b64 exec, s[20:21]                                   // 0000000074F4: BEFE0114
	buffer_store_dword v77, v6, s[8:11], 0 offen               // 0000000074F8: E0701000 80024D06
	buffer_store_dword v79, v6, s[8:11], 0 offen offset:128    // 000000007500: E0701080 80024F06
	s_mov_b64 exec, s[16:17]                                   // 000000007508: BEFE0110
	s_waitcnt lgkmcnt(0)                                       // 00000000750C: BF8CC07F
	s_barrier                                                  // 000000007510: BF8A0000
	ds_write_b64 v16, v[104:105]                               // 000000007514: D89A0000 00006810
	ds_write_b64 v16, v[106:107] offset:4352                   // 00000000751C: D89A1100 00006A10
	ds_write_b64 v16, v[108:109] offset:8704                   // 000000007524: D89A2200 00006C10
	ds_write_b64 v16, v[110:111] offset:13056                  // 00000000752C: D89A3300 00006E10
	ds_write_b64 v16, v[112:113] offset:17408                  // 000000007534: D89A4400 00007010
	ds_write_b64 v16, v[114:115] offset:21760                  // 00000000753C: D89A5500 00007210
	ds_write_b64 v16, v[116:117] offset:2176                   // 000000007544: D89A0880 00007410
	ds_write_b64 v16, v[118:119] offset:6528                   // 00000000754C: D89A1980 00007610
	ds_write_b64 v16, v[120:121] offset:10880                  // 000000007554: D89A2A80 00007810
	ds_write_b64 v16, v[122:123] offset:15232                  // 00000000755C: D89A3B80 00007A10
	ds_write_b64 v16, v[124:125] offset:19584                  // 000000007564: D89A4C80 00007C10
	ds_write_b64 v16, v[126:127] offset:23936                  // 00000000756C: D89A5D80 00007E10
	s_waitcnt lgkmcnt(0)                                       // 000000007574: BF8CC07F
	s_barrier                                                  // 000000007578: BF8A0000
	ds_read_b32 v104, v17                                      // 00000000757C: D86C0000 68000011
	ds_read_b32 v105, v17 offset:64                            // 000000007584: D86C0040 69000011
	ds_read_b32 v106, v17 offset:2176                          // 00000000758C: D86C0880 6A000011
	ds_read_b32 v107, v17 offset:2240                          // 000000007594: D86C08C0 6B000011
	ds_read_b32 v108, v17 offset:4352                          // 00000000759C: D86C1100 6C000011
	ds_read_b32 v109, v17 offset:4416                          // 0000000075A4: D86C1140 6D000011
	ds_read_b32 v110, v17 offset:6528                          // 0000000075AC: D86C1980 6E000011
	ds_read_b32 v111, v17 offset:6592                          // 0000000075B4: D86C19C0 6F000011
	ds_read_b32 v112, v17 offset:8704                          // 0000000075BC: D86C2200 70000011
	ds_read_b32 v113, v17 offset:8768                          // 0000000075C4: D86C2240 71000011
	ds_read_b32 v114, v17 offset:10880                         // 0000000075CC: D86C2A80 72000011
	ds_read_b32 v115, v17 offset:10944                         // 0000000075D4: D86C2AC0 73000011
	ds_read_b32 v116, v17 offset:13056                         // 0000000075DC: D86C3300 74000011
	ds_read_b32 v117, v17 offset:13120                         // 0000000075E4: D86C3340 75000011
	ds_read_b32 v118, v17 offset:15232                         // 0000000075EC: D86C3B80 76000011
	ds_read_b32 v119, v17 offset:15296                         // 0000000075F4: D86C3BC0 77000011
	ds_read_b32 v120, v17 offset:17408                         // 0000000075FC: D86C4400 78000011
	ds_read_b32 v121, v17 offset:17472                         // 000000007604: D86C4440 79000011
	ds_read_b32 v122, v17 offset:19584                         // 00000000760C: D86C4C80 7A000011
	ds_read_b32 v123, v17 offset:19648                         // 000000007614: D86C4CC0 7B000011
	ds_read_b32 v124, v17 offset:21760                         // 00000000761C: D86C5500 7C000011
	ds_read_b32 v125, v17 offset:21824                         // 000000007624: D86C5540 7D000011
	ds_read_b32 v126, v17 offset:23936                         // 00000000762C: D86C5D80 7E000011
	ds_read_b32 v127, v17 offset:24000                         // 000000007634: D86C5DC0 7F000011
	s_waitcnt lgkmcnt(0)                                       // 00000000763C: BF8CC07F
	s_mov_b32 s16, -1                                          // 000000007640: BE9000C1
	s_mov_b32 s17, -1                                          // 000000007644: BE9100C1
	v_mov_b32_e32 v7, 0                                        // 000000007648: 7E0E0280
	s_add_u32 s8, 0x100, s8                                    // 00000000764C: 800808FF 00000100
	s_addc_u32 s9, 0, s9                                       // 000000007654: 82090980
	s_or_b32 s9, s9, 0x40000                                   // 000000007658: 8709FF09 00040000
	s_mov_b64 exec, s[16:17]                                   // 000000007660: BEFE0110
	v_mov_b32_e32 v6, v80                                      // 000000007664: 7E0C0350
	s_mov_b64 s[52:53], 0                                      // 000000007668: BEB40180
	v_readlane_b32 s72, v3, 0                                  // 00000000766C: D2890048 00010103
	s_cmp_lt_u32 s72, s62                                      // 000000007674: BF0A3E48
	s_cselect_b32 s20, s16, s52                                // 000000007678: 85143410
	v_readlane_b32 s72, v3, 1                                  // 00000000767C: D2890048 00010303
	s_cmp_lt_u32 s72, s62                                      // 000000007684: BF0A3E48
	s_cselect_b32 s21, s16, s52                                // 000000007688: 85153410
	s_mov_b64 exec, s[20:21]                                   // 00000000768C: BEFE0114
	buffer_store_dword v104, v6, s[8:11], 0 offen              // 000000007690: E0701000 80026806
	buffer_store_dword v106, v6, s[8:11], 0 offen offset:128   // 000000007698: E0701080 80026A06
	s_mov_b64 exec, s[16:17]                                   // 0000000076A0: BEFE0110
	v_mov_b32_e32 v6, v81                                      // 0000000076A4: 7E0C0351
	s_mov_b64 s[52:53], 0                                      // 0000000076A8: BEB40180
	v_readlane_b32 s72, v3, 2                                  // 0000000076AC: D2890048 00010503
	s_cmp_lt_u32 s72, s62                                      // 0000000076B4: BF0A3E48
	s_cselect_b32 s20, s16, s52                                // 0000000076B8: 85143410
	v_readlane_b32 s72, v3, 3                                  // 0000000076BC: D2890048 00010703
	s_cmp_lt_u32 s72, s62                                      // 0000000076C4: BF0A3E48
	s_cselect_b32 s21, s16, s52                                // 0000000076C8: 85153410
	s_mov_b64 exec, s[20:21]                                   // 0000000076CC: BEFE0114
	buffer_store_dword v105, v6, s[8:11], 0 offen              // 0000000076D0: E0701000 80026906
	buffer_store_dword v107, v6, s[8:11], 0 offen offset:128   // 0000000076D8: E0701080 80026B06
	s_mov_b64 exec, s[16:17]                                   // 0000000076E0: BEFE0110
	v_mov_b32_e32 v6, v82                                      // 0000000076E4: 7E0C0352
	s_mov_b64 s[52:53], 0                                      // 0000000076E8: BEB40180
	v_readlane_b32 s72, v3, 4                                  // 0000000076EC: D2890048 00010903
	s_cmp_lt_u32 s72, s62                                      // 0000000076F4: BF0A3E48
	s_cselect_b32 s20, s16, s52                                // 0000000076F8: 85143410
	v_readlane_b32 s72, v3, 5                                  // 0000000076FC: D2890048 00010B03
	s_cmp_lt_u32 s72, s62                                      // 000000007704: BF0A3E48
	s_cselect_b32 s21, s16, s52                                // 000000007708: 85153410
	s_mov_b64 exec, s[20:21]                                   // 00000000770C: BEFE0114
	buffer_store_dword v108, v6, s[8:11], 0 offen              // 000000007710: E0701000 80026C06
	buffer_store_dword v110, v6, s[8:11], 0 offen offset:128   // 000000007718: E0701080 80026E06
	s_mov_b64 exec, s[16:17]                                   // 000000007720: BEFE0110
	v_mov_b32_e32 v6, v83                                      // 000000007724: 7E0C0353
	s_mov_b64 s[52:53], 0                                      // 000000007728: BEB40180
	v_readlane_b32 s72, v3, 6                                  // 00000000772C: D2890048 00010D03
	s_cmp_lt_u32 s72, s62                                      // 000000007734: BF0A3E48
	s_cselect_b32 s20, s16, s52                                // 000000007738: 85143410
	v_readlane_b32 s72, v3, 7                                  // 00000000773C: D2890048 00010F03
	s_cmp_lt_u32 s72, s62                                      // 000000007744: BF0A3E48
	s_cselect_b32 s21, s16, s52                                // 000000007748: 85153410
	s_mov_b64 exec, s[20:21]                                   // 00000000774C: BEFE0114
	buffer_store_dword v109, v6, s[8:11], 0 offen              // 000000007750: E0701000 80026D06
	buffer_store_dword v111, v6, s[8:11], 0 offen offset:128   // 000000007758: E0701080 80026F06
	s_mov_b64 exec, s[16:17]                                   // 000000007760: BEFE0110
	v_mov_b32_e32 v6, v84                                      // 000000007764: 7E0C0354
	s_mov_b64 s[52:53], 0                                      // 000000007768: BEB40180
	v_readlane_b32 s72, v3, 8                                  // 00000000776C: D2890048 00011103
	s_cmp_lt_u32 s72, s62                                      // 000000007774: BF0A3E48
	s_cselect_b32 s20, s16, s52                                // 000000007778: 85143410
	v_readlane_b32 s72, v3, 9                                  // 00000000777C: D2890048 00011303
	s_cmp_lt_u32 s72, s62                                      // 000000007784: BF0A3E48
	s_cselect_b32 s21, s16, s52                                // 000000007788: 85153410
	s_mov_b64 exec, s[20:21]                                   // 00000000778C: BEFE0114
	buffer_store_dword v112, v6, s[8:11], 0 offen              // 000000007790: E0701000 80027006
	buffer_store_dword v114, v6, s[8:11], 0 offen offset:128   // 000000007798: E0701080 80027206
	s_mov_b64 exec, s[16:17]                                   // 0000000077A0: BEFE0110
	v_mov_b32_e32 v6, v85                                      // 0000000077A4: 7E0C0355
	s_mov_b64 s[52:53], 0                                      // 0000000077A8: BEB40180
	v_readlane_b32 s72, v3, 10                                 // 0000000077AC: D2890048 00011503
	s_cmp_lt_u32 s72, s62                                      // 0000000077B4: BF0A3E48
	s_cselect_b32 s20, s16, s52                                // 0000000077B8: 85143410
	v_readlane_b32 s72, v3, 11                                 // 0000000077BC: D2890048 00011703
	s_cmp_lt_u32 s72, s62                                      // 0000000077C4: BF0A3E48
	s_cselect_b32 s21, s16, s52                                // 0000000077C8: 85153410
	s_mov_b64 exec, s[20:21]                                   // 0000000077CC: BEFE0114
	buffer_store_dword v113, v6, s[8:11], 0 offen              // 0000000077D0: E0701000 80027106
	buffer_store_dword v115, v6, s[8:11], 0 offen offset:128   // 0000000077D8: E0701080 80027306
	s_mov_b64 exec, s[16:17]                                   // 0000000077E0: BEFE0110
	v_mov_b32_e32 v6, v86                                      // 0000000077E4: 7E0C0356
	s_mov_b64 s[52:53], 0                                      // 0000000077E8: BEB40180
	v_readlane_b32 s72, v3, 12                                 // 0000000077EC: D2890048 00011903
	s_cmp_lt_u32 s72, s62                                      // 0000000077F4: BF0A3E48
	s_cselect_b32 s20, s16, s52                                // 0000000077F8: 85143410
	v_readlane_b32 s72, v3, 13                                 // 0000000077FC: D2890048 00011B03
	s_cmp_lt_u32 s72, s62                                      // 000000007804: BF0A3E48
	s_cselect_b32 s21, s16, s52                                // 000000007808: 85153410
	s_mov_b64 exec, s[20:21]                                   // 00000000780C: BEFE0114
	buffer_store_dword v116, v6, s[8:11], 0 offen              // 000000007810: E0701000 80027406
	buffer_store_dword v118, v6, s[8:11], 0 offen offset:128   // 000000007818: E0701080 80027606
	s_mov_b64 exec, s[16:17]                                   // 000000007820: BEFE0110
	v_mov_b32_e32 v6, v87                                      // 000000007824: 7E0C0357
	s_mov_b64 s[52:53], 0                                      // 000000007828: BEB40180
	v_readlane_b32 s72, v3, 14                                 // 00000000782C: D2890048 00011D03
	s_cmp_lt_u32 s72, s62                                      // 000000007834: BF0A3E48
	s_cselect_b32 s20, s16, s52                                // 000000007838: 85143410
	v_readlane_b32 s72, v3, 15                                 // 00000000783C: D2890048 00011F03
	s_cmp_lt_u32 s72, s62                                      // 000000007844: BF0A3E48
	s_cselect_b32 s21, s16, s52                                // 000000007848: 85153410
	s_mov_b64 exec, s[20:21]                                   // 00000000784C: BEFE0114
	buffer_store_dword v117, v6, s[8:11], 0 offen              // 000000007850: E0701000 80027506
	buffer_store_dword v119, v6, s[8:11], 0 offen offset:128   // 000000007858: E0701080 80027706
	s_mov_b64 exec, s[16:17]                                   // 000000007860: BEFE0110
	v_mov_b32_e32 v6, v88                                      // 000000007864: 7E0C0358
	s_mov_b64 s[52:53], 0                                      // 000000007868: BEB40180
	v_readlane_b32 s72, v3, 16                                 // 00000000786C: D2890048 00012103
	s_cmp_lt_u32 s72, s62                                      // 000000007874: BF0A3E48
	s_cselect_b32 s20, s16, s52                                // 000000007878: 85143410
	v_readlane_b32 s72, v3, 17                                 // 00000000787C: D2890048 00012303
	s_cmp_lt_u32 s72, s62                                      // 000000007884: BF0A3E48
	s_cselect_b32 s21, s16, s52                                // 000000007888: 85153410
	s_mov_b64 exec, s[20:21]                                   // 00000000788C: BEFE0114
	buffer_store_dword v120, v6, s[8:11], 0 offen              // 000000007890: E0701000 80027806
	buffer_store_dword v122, v6, s[8:11], 0 offen offset:128   // 000000007898: E0701080 80027A06
	s_mov_b64 exec, s[16:17]                                   // 0000000078A0: BEFE0110
	v_mov_b32_e32 v6, v89                                      // 0000000078A4: 7E0C0359
	s_mov_b64 s[52:53], 0                                      // 0000000078A8: BEB40180
	v_readlane_b32 s72, v3, 18                                 // 0000000078AC: D2890048 00012503
	s_cmp_lt_u32 s72, s62                                      // 0000000078B4: BF0A3E48
	s_cselect_b32 s20, s16, s52                                // 0000000078B8: 85143410
	v_readlane_b32 s72, v3, 19                                 // 0000000078BC: D2890048 00012703
	s_cmp_lt_u32 s72, s62                                      // 0000000078C4: BF0A3E48
	s_cselect_b32 s21, s16, s52                                // 0000000078C8: 85153410
	s_mov_b64 exec, s[20:21]                                   // 0000000078CC: BEFE0114
	buffer_store_dword v121, v6, s[8:11], 0 offen              // 0000000078D0: E0701000 80027906
	buffer_store_dword v123, v6, s[8:11], 0 offen offset:128   // 0000000078D8: E0701080 80027B06
	s_mov_b64 exec, s[16:17]                                   // 0000000078E0: BEFE0110
	v_mov_b32_e32 v6, v90                                      // 0000000078E4: 7E0C035A
	s_mov_b64 s[52:53], 0                                      // 0000000078E8: BEB40180
	v_readlane_b32 s72, v3, 20                                 // 0000000078EC: D2890048 00012903
	s_cmp_lt_u32 s72, s62                                      // 0000000078F4: BF0A3E48
	s_cselect_b32 s20, s16, s52                                // 0000000078F8: 85143410
	v_readlane_b32 s72, v3, 21                                 // 0000000078FC: D2890048 00012B03
	s_cmp_lt_u32 s72, s62                                      // 000000007904: BF0A3E48
	s_cselect_b32 s21, s16, s52                                // 000000007908: 85153410
	s_mov_b64 exec, s[20:21]                                   // 00000000790C: BEFE0114
	buffer_store_dword v124, v6, s[8:11], 0 offen              // 000000007910: E0701000 80027C06
	buffer_store_dword v126, v6, s[8:11], 0 offen offset:128   // 000000007918: E0701080 80027E06
	s_mov_b64 exec, s[16:17]                                   // 000000007920: BEFE0110
	v_mov_b32_e32 v6, v91                                      // 000000007924: 7E0C035B
	s_mov_b64 s[52:53], 0                                      // 000000007928: BEB40180
	v_readlane_b32 s72, v3, 22                                 // 00000000792C: D2890048 00012D03
	s_cmp_lt_u32 s72, s62                                      // 000000007934: BF0A3E48
	s_cselect_b32 s20, s16, s52                                // 000000007938: 85143410
	v_readlane_b32 s72, v3, 23                                 // 00000000793C: D2890048 00012F03
	s_cmp_lt_u32 s72, s62                                      // 000000007944: BF0A3E48
	s_cselect_b32 s21, s16, s52                                // 000000007948: 85153410
	s_mov_b64 exec, s[20:21]                                   // 00000000794C: BEFE0114
	buffer_store_dword v125, v6, s[8:11], 0 offen              // 000000007950: E0701000 80027D06
	buffer_store_dword v127, v6, s[8:11], 0 offen offset:128   // 000000007958: E0701080 80027F06
	s_mov_b64 exec, s[16:17]                                   // 000000007960: BEFE0110
	s_branch label_18F7                                        // 000000007964: BF8204DA

0000000000007968 <label_141D>:
	ds_write_b64 v16, v[56:57]                                 // 000000007968: D89A0000 00003810
	ds_write_b64 v16, v[60:61] offset:4352                     // 000000007970: D89A1100 00003C10
	ds_write_b64 v16, v[64:65] offset:8704                     // 000000007978: D89A2200 00004010
	ds_write_b64 v16, v[68:69] offset:13056                    // 000000007980: D89A3300 00004410
	ds_write_b64 v16, v[72:73] offset:17408                    // 000000007988: D89A4400 00004810
	ds_write_b64 v16, v[76:77] offset:21760                    // 000000007990: D89A5500 00004C10
	ds_write_b64 v16, v[80:81] offset:2176                     // 000000007998: D89A0880 00005010
	ds_write_b64 v16, v[84:85] offset:6528                     // 0000000079A0: D89A1980 00005410
	ds_write_b64 v16, v[88:89] offset:10880                    // 0000000079A8: D89A2A80 00005810
	ds_write_b64 v16, v[92:93] offset:15232                    // 0000000079B0: D89A3B80 00005C10
	ds_write_b64 v16, v[96:97] offset:19584                    // 0000000079B8: D89A4C80 00006010
	ds_write_b64 v16, v[100:101] offset:23936                  // 0000000079C0: D89A5D80 00006410
	v_lshrrev_b32_e32 v4, 5, v0                                // 0000000079C8: 20080085
	v_xor_b32_e32 v5, 1, v4                                    // 0000000079CC: 2A0A0881
	s_mul_i32 s52, s61, 2                                      // 0000000079D0: 9234823D
	s_cmp_eq_u32 s74, 0                                        // 0000000079D4: BF06804A
	s_cselect_b32 s53, 1, 4                                    // 0000000079D8: 85358481
	s_mul_i32 s52, s53, s52                                    // 0000000079DC: 92343435
	v_readlane_b32 s72, v3, 0                                  // 0000000079E0: D2890048 00010103
	s_mul_i32 s72, s72, s66                                    // 0000000079E8: 92484248
	v_mul_lo_u32 v6, v5, s72                                   // 0000000079EC: D2850006 00009105
	v_readlane_b32 s72, v3, 1                                  // 0000000079F4: D2890048 00010303
	s_mul_i32 s72, s72, s66                                    // 0000000079FC: 92484248
	v_mul_lo_u32 v7, v4, s72                                   // 000000007A00: D2850007 00009104
	v_add_u32_e32 v80, v6, v7                                  // 000000007A08: 68A00F06
	v_readlane_b32 s72, v3, 2                                  // 000000007A0C: D2890048 00010503
	s_mul_i32 s72, s72, s66                                    // 000000007A14: 92484248
	v_mul_lo_u32 v6, v5, s72                                   // 000000007A18: D2850006 00009105
	v_readlane_b32 s72, v3, 3                                  // 000000007A20: D2890048 00010703
	s_mul_i32 s72, s72, s66                                    // 000000007A28: 92484248
	v_mul_lo_u32 v7, v4, s72                                   // 000000007A2C: D2850007 00009104
	v_add_u32_e32 v81, v6, v7                                  // 000000007A34: 68A20F06
	v_readlane_b32 s72, v3, 4                                  // 000000007A38: D2890048 00010903
	s_mul_i32 s72, s72, s66                                    // 000000007A40: 92484248
	v_mul_lo_u32 v6, v5, s72                                   // 000000007A44: D2850006 00009105
	v_readlane_b32 s72, v3, 5                                  // 000000007A4C: D2890048 00010B03
	s_mul_i32 s72, s72, s66                                    // 000000007A54: 92484248
	v_mul_lo_u32 v7, v4, s72                                   // 000000007A58: D2850007 00009104
	v_add_u32_e32 v82, v6, v7                                  // 000000007A60: 68A40F06
	v_readlane_b32 s72, v3, 6                                  // 000000007A64: D2890048 00010D03
	s_mul_i32 s72, s72, s66                                    // 000000007A6C: 92484248
	v_mul_lo_u32 v6, v5, s72                                   // 000000007A70: D2850006 00009105
	v_readlane_b32 s72, v3, 7                                  // 000000007A78: D2890048 00010F03
	s_mul_i32 s72, s72, s66                                    // 000000007A80: 92484248
	v_mul_lo_u32 v7, v4, s72                                   // 000000007A84: D2850007 00009104
	v_add_u32_e32 v83, v6, v7                                  // 000000007A8C: 68A60F06
	v_readlane_b32 s72, v3, 8                                  // 000000007A90: D2890048 00011103
	s_mul_i32 s72, s72, s66                                    // 000000007A98: 92484248
	v_mul_lo_u32 v6, v5, s72                                   // 000000007A9C: D2850006 00009105
	v_readlane_b32 s72, v3, 9                                  // 000000007AA4: D2890048 00011303
	s_mul_i32 s72, s72, s66                                    // 000000007AAC: 92484248
	v_mul_lo_u32 v7, v4, s72                                   // 000000007AB0: D2850007 00009104
	v_add_u32_e32 v84, v6, v7                                  // 000000007AB8: 68A80F06
	v_readlane_b32 s72, v3, 10                                 // 000000007ABC: D2890048 00011503
	s_mul_i32 s72, s72, s66                                    // 000000007AC4: 92484248
	v_mul_lo_u32 v6, v5, s72                                   // 000000007AC8: D2850006 00009105
	v_readlane_b32 s72, v3, 11                                 // 000000007AD0: D2890048 00011703
	s_mul_i32 s72, s72, s66                                    // 000000007AD8: 92484248
	v_mul_lo_u32 v7, v4, s72                                   // 000000007ADC: D2850007 00009104
	v_add_u32_e32 v85, v6, v7                                  // 000000007AE4: 68AA0F06
	v_readlane_b32 s72, v3, 12                                 // 000000007AE8: D2890048 00011903
	s_mul_i32 s72, s72, s66                                    // 000000007AF0: 92484248
	v_mul_lo_u32 v6, v5, s72                                   // 000000007AF4: D2850006 00009105
	v_readlane_b32 s72, v3, 13                                 // 000000007AFC: D2890048 00011B03
	s_mul_i32 s72, s72, s66                                    // 000000007B04: 92484248
	v_mul_lo_u32 v7, v4, s72                                   // 000000007B08: D2850007 00009104
	v_add_u32_e32 v86, v6, v7                                  // 000000007B10: 68AC0F06
	v_readlane_b32 s72, v3, 14                                 // 000000007B14: D2890048 00011D03
	s_mul_i32 s72, s72, s66                                    // 000000007B1C: 92484248
	v_mul_lo_u32 v6, v5, s72                                   // 000000007B20: D2850006 00009105
	v_readlane_b32 s72, v3, 15                                 // 000000007B28: D2890048 00011F03
	s_mul_i32 s72, s72, s66                                    // 000000007B30: 92484248
	v_mul_lo_u32 v7, v4, s72                                   // 000000007B34: D2850007 00009104
	v_add_u32_e32 v87, v6, v7                                  // 000000007B3C: 68AE0F06
	v_readlane_b32 s72, v3, 16                                 // 000000007B40: D2890048 00012103
	s_mul_i32 s72, s72, s66                                    // 000000007B48: 92484248
	v_mul_lo_u32 v6, v5, s72                                   // 000000007B4C: D2850006 00009105
	v_readlane_b32 s72, v3, 17                                 // 000000007B54: D2890048 00012303
	s_mul_i32 s72, s72, s66                                    // 000000007B5C: 92484248
	v_mul_lo_u32 v7, v4, s72                                   // 000000007B60: D2850007 00009104
	v_add_u32_e32 v88, v6, v7                                  // 000000007B68: 68B00F06
	v_readlane_b32 s72, v3, 18                                 // 000000007B6C: D2890048 00012503
	s_mul_i32 s72, s72, s66                                    // 000000007B74: 92484248
	v_mul_lo_u32 v6, v5, s72                                   // 000000007B78: D2850006 00009105
	v_readlane_b32 s72, v3, 19                                 // 000000007B80: D2890048 00012703
	s_mul_i32 s72, s72, s66                                    // 000000007B88: 92484248
	v_mul_lo_u32 v7, v4, s72                                   // 000000007B8C: D2850007 00009104
	v_add_u32_e32 v89, v6, v7                                  // 000000007B94: 68B20F06
	v_readlane_b32 s72, v3, 20                                 // 000000007B98: D2890048 00012903
	s_mul_i32 s72, s72, s66                                    // 000000007BA0: 92484248
	v_mul_lo_u32 v6, v5, s72                                   // 000000007BA4: D2850006 00009105
	v_readlane_b32 s72, v3, 21                                 // 000000007BAC: D2890048 00012B03
	s_mul_i32 s72, s72, s66                                    // 000000007BB4: 92484248
	v_mul_lo_u32 v7, v4, s72                                   // 000000007BB8: D2850007 00009104
	v_add_u32_e32 v90, v6, v7                                  // 000000007BC0: 68B40F06
	v_readlane_b32 s72, v3, 22                                 // 000000007BC4: D2890048 00012D03
	s_mul_i32 s72, s72, s66                                    // 000000007BCC: 92484248
	v_mul_lo_u32 v6, v5, s72                                   // 000000007BD0: D2850006 00009105
	v_readlane_b32 s72, v3, 23                                 // 000000007BD8: D2890048 00012F03
	s_mul_i32 s72, s72, s66                                    // 000000007BE0: 92484248
	v_mul_lo_u32 v7, v4, s72                                   // 000000007BE4: D2850007 00009104
	v_add_u32_e32 v91, v6, v7                                  // 000000007BEC: 68B60F06
	v_and_b32_e32 v4, 31, v0                                   // 000000007BF0: 2608009F
	v_lshrrev_b32_e32 v4, 1, v4                                // 000000007BF4: 20080881
	s_cmp_eq_u32 s74, 0                                        // 000000007BF8: BF06804A
	s_cselect_b32 s53, 2, 4                                    // 000000007BFC: 85358482
	v_mul_lo_u32 v4, v4, s53                                   // 000000007C00: D2850004 00006B04
	v_and_b32_e64 v5, v0, 1                                    // 000000007C08: D1130005 00010300
	v_add_u32_e32 v4, v4, v5                                   // 000000007C10: 68080B04
	v_lshlrev_b32_e32 v4, 2, v4                                // 000000007C14: 24080882
	v_add_u32_e32 v80, v80, v4                                 // 000000007C18: 68A00950
	v_add_u32_e32 v81, v81, v4                                 // 000000007C1C: 68A20951
	v_add_u32_e32 v82, v82, v4                                 // 000000007C20: 68A40952
	v_add_u32_e32 v83, v83, v4                                 // 000000007C24: 68A60953
	v_add_u32_e32 v84, v84, v4                                 // 000000007C28: 68A80954
	v_add_u32_e32 v85, v85, v4                                 // 000000007C2C: 68AA0955
	v_add_u32_e32 v86, v86, v4                                 // 000000007C30: 68AC0956
	v_add_u32_e32 v87, v87, v4                                 // 000000007C34: 68AE0957
	v_add_u32_e32 v88, v88, v4                                 // 000000007C38: 68B00958
	v_add_u32_e32 v89, v89, v4                                 // 000000007C3C: 68B20959
	v_add_u32_e32 v90, v90, v4                                 // 000000007C40: 68B4095A
	v_add_u32_e32 v91, v91, v4                                 // 000000007C44: 68B6095B
	s_waitcnt lgkmcnt(0)                                       // 000000007C48: BF8CC07F
	s_barrier                                                  // 000000007C4C: BF8A0000
	ds_read_b32 v56, v17                                       // 000000007C50: D86C0000 38000011
	ds_read_b32 v57, v17 offset:64                             // 000000007C58: D86C0040 39000011
	ds_read_b32 v60, v17 offset:2176                           // 000000007C60: D86C0880 3C000011
	ds_read_b32 v61, v17 offset:2240                           // 000000007C68: D86C08C0 3D000011
	ds_read_b32 v64, v17 offset:4352                           // 000000007C70: D86C1100 40000011
	ds_read_b32 v65, v17 offset:4416                           // 000000007C78: D86C1140 41000011
	ds_read_b32 v68, v17 offset:6528                           // 000000007C80: D86C1980 44000011
	ds_read_b32 v69, v17 offset:6592                           // 000000007C88: D86C19C0 45000011
	ds_read_b32 v72, v17 offset:8704                           // 000000007C90: D86C2200 48000011
	ds_read_b32 v73, v17 offset:8768                           // 000000007C98: D86C2240 49000011
	ds_read_b32 v76, v17 offset:10880                          // 000000007CA0: D86C2A80 4C000011
	ds_read_b32 v77, v17 offset:10944                          // 000000007CA8: D86C2AC0 4D000011
	ds_read_b32 v80, v17 offset:13056                          // 000000007CB0: D86C3300 50000011
	ds_read_b32 v81, v17 offset:13120                          // 000000007CB8: D86C3340 51000011
	ds_read_b32 v84, v17 offset:15232                          // 000000007CC0: D86C3B80 54000011
	ds_read_b32 v85, v17 offset:15296                          // 000000007CC8: D86C3BC0 55000011
	ds_read_b32 v88, v17 offset:17408                          // 000000007CD0: D86C4400 58000011
	ds_read_b32 v89, v17 offset:17472                          // 000000007CD8: D86C4440 59000011
	ds_read_b32 v92, v17 offset:19584                          // 000000007CE0: D86C4C80 5C000011
	ds_read_b32 v93, v17 offset:19648                          // 000000007CE8: D86C4CC0 5D000011
	ds_read_b32 v96, v17 offset:21760                          // 000000007CF0: D86C5500 60000011
	ds_read_b32 v97, v17 offset:21824                          // 000000007CF8: D86C5540 61000011
	ds_read_b32 v100, v17 offset:23936                         // 000000007D00: D86C5D80 64000011
	ds_read_b32 v101, v17 offset:24000                         // 000000007D08: D86C5DC0 65000011
	s_waitcnt lgkmcnt(0)                                       // 000000007D10: BF8CC07F
	s_mov_b32 s16, -1                                          // 000000007D14: BE9000C1
	s_mov_b32 s17, -1                                          // 000000007D18: BE9100C1
	v_mov_b32_e32 v7, 0                                        // 000000007D1C: 7E0E0280
	s_mov_b64 exec, s[16:17]                                   // 000000007D20: BEFE0110
	v_mov_b32_e32 v6, v80                                      // 000000007D24: 7E0C0350
	s_mov_b64 s[52:53], 0                                      // 000000007D28: BEB40180
	v_readlane_b32 s72, v3, 0                                  // 000000007D2C: D2890048 00010103
	s_cmp_lt_u32 s72, s62                                      // 000000007D34: BF0A3E48
	s_cselect_b32 s20, s16, s52                                // 000000007D38: 85143410
	v_readlane_b32 s72, v3, 1                                  // 000000007D3C: D2890048 00010303
	s_cmp_lt_u32 s72, s62                                      // 000000007D44: BF0A3E48
	s_cselect_b32 s21, s16, s52                                // 000000007D48: 85153410
	s_mov_b64 exec, s[20:21]                                   // 000000007D4C: BEFE0114
	global_atomic_add_f32 v6, v56, s[8:9]                      // 000000007D50: DD348000 00083806
	global_atomic_add_f32 v6, v60, s[8:9] offset:256           // 000000007D58: DD348100 00083C06
	s_mov_b64 exec, s[16:17]                                   // 000000007D60: BEFE0110
	v_mov_b32_e32 v6, v81                                      // 000000007D64: 7E0C0351
	s_mov_b64 s[52:53], 0                                      // 000000007D68: BEB40180
	v_readlane_b32 s72, v3, 2                                  // 000000007D6C: D2890048 00010503
	s_cmp_lt_u32 s72, s62                                      // 000000007D74: BF0A3E48
	s_cselect_b32 s20, s16, s52                                // 000000007D78: 85143410
	v_readlane_b32 s72, v3, 3                                  // 000000007D7C: D2890048 00010703
	s_cmp_lt_u32 s72, s62                                      // 000000007D84: BF0A3E48
	s_cselect_b32 s21, s16, s52                                // 000000007D88: 85153410
	s_mov_b64 exec, s[20:21]                                   // 000000007D8C: BEFE0114
	global_atomic_add_f32 v6, v57, s[8:9]                      // 000000007D90: DD348000 00083906
	global_atomic_add_f32 v6, v61, s[8:9] offset:256           // 000000007D98: DD348100 00083D06
	s_mov_b64 exec, s[16:17]                                   // 000000007DA0: BEFE0110
	v_mov_b32_e32 v6, v82                                      // 000000007DA4: 7E0C0352
	s_mov_b64 s[52:53], 0                                      // 000000007DA8: BEB40180
	v_readlane_b32 s72, v3, 4                                  // 000000007DAC: D2890048 00010903
	s_cmp_lt_u32 s72, s62                                      // 000000007DB4: BF0A3E48
	s_cselect_b32 s20, s16, s52                                // 000000007DB8: 85143410
	v_readlane_b32 s72, v3, 5                                  // 000000007DBC: D2890048 00010B03
	s_cmp_lt_u32 s72, s62                                      // 000000007DC4: BF0A3E48
	s_cselect_b32 s21, s16, s52                                // 000000007DC8: 85153410
	s_mov_b64 exec, s[20:21]                                   // 000000007DCC: BEFE0114
	global_atomic_add_f32 v6, v64, s[8:9]                      // 000000007DD0: DD348000 00084006
	global_atomic_add_f32 v6, v68, s[8:9] offset:256           // 000000007DD8: DD348100 00084406
	s_mov_b64 exec, s[16:17]                                   // 000000007DE0: BEFE0110
	v_mov_b32_e32 v6, v83                                      // 000000007DE4: 7E0C0353
	s_mov_b64 s[52:53], 0                                      // 000000007DE8: BEB40180
	v_readlane_b32 s72, v3, 6                                  // 000000007DEC: D2890048 00010D03
	s_cmp_lt_u32 s72, s62                                      // 000000007DF4: BF0A3E48
	s_cselect_b32 s20, s16, s52                                // 000000007DF8: 85143410
	v_readlane_b32 s72, v3, 7                                  // 000000007DFC: D2890048 00010F03
	s_cmp_lt_u32 s72, s62                                      // 000000007E04: BF0A3E48
	s_cselect_b32 s21, s16, s52                                // 000000007E08: 85153410
	s_mov_b64 exec, s[20:21]                                   // 000000007E0C: BEFE0114
	global_atomic_add_f32 v6, v65, s[8:9]                      // 000000007E10: DD348000 00084106
	global_atomic_add_f32 v6, v69, s[8:9] offset:256           // 000000007E18: DD348100 00084506
	s_mov_b64 exec, s[16:17]                                   // 000000007E20: BEFE0110
	v_mov_b32_e32 v6, v84                                      // 000000007E24: 7E0C0354
	s_mov_b64 s[52:53], 0                                      // 000000007E28: BEB40180
	v_readlane_b32 s72, v3, 8                                  // 000000007E2C: D2890048 00011103
	s_cmp_lt_u32 s72, s62                                      // 000000007E34: BF0A3E48
	s_cselect_b32 s20, s16, s52                                // 000000007E38: 85143410
	v_readlane_b32 s72, v3, 9                                  // 000000007E3C: D2890048 00011303
	s_cmp_lt_u32 s72, s62                                      // 000000007E44: BF0A3E48
	s_cselect_b32 s21, s16, s52                                // 000000007E48: 85153410
	s_mov_b64 exec, s[20:21]                                   // 000000007E4C: BEFE0114
	global_atomic_add_f32 v6, v72, s[8:9]                      // 000000007E50: DD348000 00084806
	global_atomic_add_f32 v6, v76, s[8:9] offset:256           // 000000007E58: DD348100 00084C06
	s_mov_b64 exec, s[16:17]                                   // 000000007E60: BEFE0110
	v_mov_b32_e32 v6, v85                                      // 000000007E64: 7E0C0355
	s_mov_b64 s[52:53], 0                                      // 000000007E68: BEB40180
	v_readlane_b32 s72, v3, 10                                 // 000000007E6C: D2890048 00011503
	s_cmp_lt_u32 s72, s62                                      // 000000007E74: BF0A3E48
	s_cselect_b32 s20, s16, s52                                // 000000007E78: 85143410
	v_readlane_b32 s72, v3, 11                                 // 000000007E7C: D2890048 00011703
	s_cmp_lt_u32 s72, s62                                      // 000000007E84: BF0A3E48
	s_cselect_b32 s21, s16, s52                                // 000000007E88: 85153410
	s_mov_b64 exec, s[20:21]                                   // 000000007E8C: BEFE0114
	global_atomic_add_f32 v6, v73, s[8:9]                      // 000000007E90: DD348000 00084906
	global_atomic_add_f32 v6, v77, s[8:9] offset:256           // 000000007E98: DD348100 00084D06
	s_mov_b64 exec, s[16:17]                                   // 000000007EA0: BEFE0110
	v_mov_b32_e32 v6, v86                                      // 000000007EA4: 7E0C0356
	s_mov_b64 s[52:53], 0                                      // 000000007EA8: BEB40180
	v_readlane_b32 s72, v3, 12                                 // 000000007EAC: D2890048 00011903
	s_cmp_lt_u32 s72, s62                                      // 000000007EB4: BF0A3E48
	s_cselect_b32 s20, s16, s52                                // 000000007EB8: 85143410
	v_readlane_b32 s72, v3, 13                                 // 000000007EBC: D2890048 00011B03
	s_cmp_lt_u32 s72, s62                                      // 000000007EC4: BF0A3E48
	s_cselect_b32 s21, s16, s52                                // 000000007EC8: 85153410
	s_mov_b64 exec, s[20:21]                                   // 000000007ECC: BEFE0114
	global_atomic_add_f32 v6, v80, s[8:9]                      // 000000007ED0: DD348000 00085006
	global_atomic_add_f32 v6, v84, s[8:9] offset:256           // 000000007ED8: DD348100 00085406
	s_mov_b64 exec, s[16:17]                                   // 000000007EE0: BEFE0110
	v_mov_b32_e32 v6, v87                                      // 000000007EE4: 7E0C0357
	s_mov_b64 s[52:53], 0                                      // 000000007EE8: BEB40180
	v_readlane_b32 s72, v3, 14                                 // 000000007EEC: D2890048 00011D03
	s_cmp_lt_u32 s72, s62                                      // 000000007EF4: BF0A3E48
	s_cselect_b32 s20, s16, s52                                // 000000007EF8: 85143410
	v_readlane_b32 s72, v3, 15                                 // 000000007EFC: D2890048 00011F03
	s_cmp_lt_u32 s72, s62                                      // 000000007F04: BF0A3E48
	s_cselect_b32 s21, s16, s52                                // 000000007F08: 85153410
	s_mov_b64 exec, s[20:21]                                   // 000000007F0C: BEFE0114
	global_atomic_add_f32 v6, v81, s[8:9]                      // 000000007F10: DD348000 00085106
	global_atomic_add_f32 v6, v85, s[8:9] offset:256           // 000000007F18: DD348100 00085506
	s_mov_b64 exec, s[16:17]                                   // 000000007F20: BEFE0110
	v_mov_b32_e32 v6, v88                                      // 000000007F24: 7E0C0358
	s_mov_b64 s[52:53], 0                                      // 000000007F28: BEB40180
	v_readlane_b32 s72, v3, 16                                 // 000000007F2C: D2890048 00012103
	s_cmp_lt_u32 s72, s62                                      // 000000007F34: BF0A3E48
	s_cselect_b32 s20, s16, s52                                // 000000007F38: 85143410
	v_readlane_b32 s72, v3, 17                                 // 000000007F3C: D2890048 00012303
	s_cmp_lt_u32 s72, s62                                      // 000000007F44: BF0A3E48
	s_cselect_b32 s21, s16, s52                                // 000000007F48: 85153410
	s_mov_b64 exec, s[20:21]                                   // 000000007F4C: BEFE0114
	global_atomic_add_f32 v6, v88, s[8:9]                      // 000000007F50: DD348000 00085806
	global_atomic_add_f32 v6, v92, s[8:9] offset:256           // 000000007F58: DD348100 00085C06
	s_mov_b64 exec, s[16:17]                                   // 000000007F60: BEFE0110
	v_mov_b32_e32 v6, v89                                      // 000000007F64: 7E0C0359
	s_mov_b64 s[52:53], 0                                      // 000000007F68: BEB40180
	v_readlane_b32 s72, v3, 18                                 // 000000007F6C: D2890048 00012503
	s_cmp_lt_u32 s72, s62                                      // 000000007F74: BF0A3E48
	s_cselect_b32 s20, s16, s52                                // 000000007F78: 85143410
	v_readlane_b32 s72, v3, 19                                 // 000000007F7C: D2890048 00012703
	s_cmp_lt_u32 s72, s62                                      // 000000007F84: BF0A3E48
	s_cselect_b32 s21, s16, s52                                // 000000007F88: 85153410
	s_mov_b64 exec, s[20:21]                                   // 000000007F8C: BEFE0114
	global_atomic_add_f32 v6, v89, s[8:9]                      // 000000007F90: DD348000 00085906
	global_atomic_add_f32 v6, v93, s[8:9] offset:256           // 000000007F98: DD348100 00085D06
	s_mov_b64 exec, s[16:17]                                   // 000000007FA0: BEFE0110
	v_mov_b32_e32 v6, v90                                      // 000000007FA4: 7E0C035A
	s_mov_b64 s[52:53], 0                                      // 000000007FA8: BEB40180
	v_readlane_b32 s72, v3, 20                                 // 000000007FAC: D2890048 00012903
	s_cmp_lt_u32 s72, s62                                      // 000000007FB4: BF0A3E48
	s_cselect_b32 s20, s16, s52                                // 000000007FB8: 85143410
	v_readlane_b32 s72, v3, 21                                 // 000000007FBC: D2890048 00012B03
	s_cmp_lt_u32 s72, s62                                      // 000000007FC4: BF0A3E48
	s_cselect_b32 s21, s16, s52                                // 000000007FC8: 85153410
	s_mov_b64 exec, s[20:21]                                   // 000000007FCC: BEFE0114
	global_atomic_add_f32 v6, v96, s[8:9]                      // 000000007FD0: DD348000 00086006
	global_atomic_add_f32 v6, v100, s[8:9] offset:256          // 000000007FD8: DD348100 00086406
	s_mov_b64 exec, s[16:17]                                   // 000000007FE0: BEFE0110
	v_mov_b32_e32 v6, v91                                      // 000000007FE4: 7E0C035B
	s_mov_b64 s[52:53], 0                                      // 000000007FE8: BEB40180
	v_readlane_b32 s72, v3, 22                                 // 000000007FEC: D2890048 00012D03
	s_cmp_lt_u32 s72, s62                                      // 000000007FF4: BF0A3E48
	s_cselect_b32 s20, s16, s52                                // 000000007FF8: 85143410
	v_readlane_b32 s72, v3, 23                                 // 000000007FFC: D2890048 00012F03
	s_cmp_lt_u32 s72, s62                                      // 000000008004: BF0A3E48
	s_cselect_b32 s21, s16, s52                                // 000000008008: 85153410
	s_mov_b64 exec, s[20:21]                                   // 00000000800C: BEFE0114
	global_atomic_add_f32 v6, v97, s[8:9]                      // 000000008010: DD348000 00086106
	global_atomic_add_f32 v6, v101, s[8:9] offset:256          // 000000008018: DD348100 00086506
	s_mov_b64 exec, s[16:17]                                   // 000000008020: BEFE0110
	ds_write_b64 v16, v[58:59]                                 // 000000008024: D89A0000 00003A10
	ds_write_b64 v16, v[62:63] offset:4352                     // 00000000802C: D89A1100 00003E10
	ds_write_b64 v16, v[66:67] offset:8704                     // 000000008034: D89A2200 00004210
	ds_write_b64 v16, v[70:71] offset:13056                    // 00000000803C: D89A3300 00004610
	ds_write_b64 v16, v[74:75] offset:17408                    // 000000008044: D89A4400 00004A10
	ds_write_b64 v16, v[78:79] offset:21760                    // 00000000804C: D89A5500 00004E10
	ds_write_b64 v16, v[82:83] offset:2176                     // 000000008054: D89A0880 00005210
	ds_write_b64 v16, v[86:87] offset:6528                     // 00000000805C: D89A1980 00005610
	ds_write_b64 v16, v[90:91] offset:10880                    // 000000008064: D89A2A80 00005A10
	ds_write_b64 v16, v[94:95] offset:15232                    // 00000000806C: D89A3B80 00005E10
	ds_write_b64 v16, v[98:99] offset:19584                    // 000000008074: D89A4C80 00006210
	ds_write_b64 v16, v[102:103] offset:23936                  // 00000000807C: D89A5D80 00006610
	s_waitcnt lgkmcnt(0)                                       // 000000008084: BF8CC07F
	s_barrier                                                  // 000000008088: BF8A0000
	ds_read_b32 v58, v17                                       // 00000000808C: D86C0000 3A000011
	ds_read_b32 v59, v17 offset:64                             // 000000008094: D86C0040 3B000011
	ds_read_b32 v62, v17 offset:2176                           // 00000000809C: D86C0880 3E000011
	ds_read_b32 v63, v17 offset:2240                           // 0000000080A4: D86C08C0 3F000011
	ds_read_b32 v66, v17 offset:4352                           // 0000000080AC: D86C1100 42000011
	ds_read_b32 v67, v17 offset:4416                           // 0000000080B4: D86C1140 43000011
	ds_read_b32 v70, v17 offset:6528                           // 0000000080BC: D86C1980 46000011
	ds_read_b32 v71, v17 offset:6592                           // 0000000080C4: D86C19C0 47000011
	ds_read_b32 v74, v17 offset:8704                           // 0000000080CC: D86C2200 4A000011
	ds_read_b32 v75, v17 offset:8768                           // 0000000080D4: D86C2240 4B000011
	ds_read_b32 v78, v17 offset:10880                          // 0000000080DC: D86C2A80 4E000011
	ds_read_b32 v79, v17 offset:10944                          // 0000000080E4: D86C2AC0 4F000011
	ds_read_b32 v82, v17 offset:13056                          // 0000000080EC: D86C3300 52000011
	ds_read_b32 v83, v17 offset:13120                          // 0000000080F4: D86C3340 53000011
	ds_read_b32 v86, v17 offset:15232                          // 0000000080FC: D86C3B80 56000011
	ds_read_b32 v87, v17 offset:15296                          // 000000008104: D86C3BC0 57000011
	ds_read_b32 v90, v17 offset:17408                          // 00000000810C: D86C4400 5A000011
	ds_read_b32 v91, v17 offset:17472                          // 000000008114: D86C4440 5B000011
	ds_read_b32 v94, v17 offset:19584                          // 00000000811C: D86C4C80 5E000011
	ds_read_b32 v95, v17 offset:19648                          // 000000008124: D86C4CC0 5F000011
	ds_read_b32 v98, v17 offset:21760                          // 00000000812C: D86C5500 62000011
	ds_read_b32 v99, v17 offset:21824                          // 000000008134: D86C5540 63000011
	ds_read_b32 v102, v17 offset:23936                         // 00000000813C: D86C5D80 66000011
	ds_read_b32 v103, v17 offset:24000                         // 000000008144: D86C5DC0 67000011
	s_waitcnt lgkmcnt(0)                                       // 00000000814C: BF8CC07F
	v_mov_b32_e32 v7, 0                                        // 000000008150: 7E0E0280
	s_mov_b64 exec, s[16:17]                                   // 000000008154: BEFE0110
	v_mov_b32_e32 v6, v80                                      // 000000008158: 7E0C0350
	s_mov_b64 s[52:53], 0                                      // 00000000815C: BEB40180
	v_readlane_b32 s72, v3, 0                                  // 000000008160: D2890048 00010103
	s_cmp_lt_u32 s72, s62                                      // 000000008168: BF0A3E48
	s_cselect_b32 s20, s16, s52                                // 00000000816C: 85143410
	v_readlane_b32 s72, v3, 1                                  // 000000008170: D2890048 00010303
	s_cmp_lt_u32 s72, s62                                      // 000000008178: BF0A3E48
	s_cselect_b32 s21, s16, s52                                // 00000000817C: 85153410
	s_mov_b64 exec, s[20:21]                                   // 000000008180: BEFE0114
	global_atomic_add_f32 v6, v58, s[8:9] offset:8             // 000000008184: DD348008 00083A06
	global_atomic_add_f32 v6, v62, s[8:9] offset:264           // 00000000818C: DD348108 00083E06
	s_mov_b64 exec, s[16:17]                                   // 000000008194: BEFE0110
	v_mov_b32_e32 v6, v81                                      // 000000008198: 7E0C0351
	s_mov_b64 s[52:53], 0                                      // 00000000819C: BEB40180
	v_readlane_b32 s72, v3, 2                                  // 0000000081A0: D2890048 00010503
	s_cmp_lt_u32 s72, s62                                      // 0000000081A8: BF0A3E48
	s_cselect_b32 s20, s16, s52                                // 0000000081AC: 85143410
	v_readlane_b32 s72, v3, 3                                  // 0000000081B0: D2890048 00010703
	s_cmp_lt_u32 s72, s62                                      // 0000000081B8: BF0A3E48
	s_cselect_b32 s21, s16, s52                                // 0000000081BC: 85153410
	s_mov_b64 exec, s[20:21]                                   // 0000000081C0: BEFE0114
	global_atomic_add_f32 v6, v59, s[8:9] offset:8             // 0000000081C4: DD348008 00083B06
	global_atomic_add_f32 v6, v63, s[8:9] offset:264           // 0000000081CC: DD348108 00083F06
	s_mov_b64 exec, s[16:17]                                   // 0000000081D4: BEFE0110
	v_mov_b32_e32 v6, v82                                      // 0000000081D8: 7E0C0352
	s_mov_b64 s[52:53], 0                                      // 0000000081DC: BEB40180
	v_readlane_b32 s72, v3, 4                                  // 0000000081E0: D2890048 00010903
	s_cmp_lt_u32 s72, s62                                      // 0000000081E8: BF0A3E48
	s_cselect_b32 s20, s16, s52                                // 0000000081EC: 85143410
	v_readlane_b32 s72, v3, 5                                  // 0000000081F0: D2890048 00010B03
	s_cmp_lt_u32 s72, s62                                      // 0000000081F8: BF0A3E48
	s_cselect_b32 s21, s16, s52                                // 0000000081FC: 85153410
	s_mov_b64 exec, s[20:21]                                   // 000000008200: BEFE0114
	global_atomic_add_f32 v6, v66, s[8:9] offset:8             // 000000008204: DD348008 00084206
	global_atomic_add_f32 v6, v70, s[8:9] offset:264           // 00000000820C: DD348108 00084606
	s_mov_b64 exec, s[16:17]                                   // 000000008214: BEFE0110
	v_mov_b32_e32 v6, v83                                      // 000000008218: 7E0C0353
	s_mov_b64 s[52:53], 0                                      // 00000000821C: BEB40180
	v_readlane_b32 s72, v3, 6                                  // 000000008220: D2890048 00010D03
	s_cmp_lt_u32 s72, s62                                      // 000000008228: BF0A3E48
	s_cselect_b32 s20, s16, s52                                // 00000000822C: 85143410
	v_readlane_b32 s72, v3, 7                                  // 000000008230: D2890048 00010F03
	s_cmp_lt_u32 s72, s62                                      // 000000008238: BF0A3E48
	s_cselect_b32 s21, s16, s52                                // 00000000823C: 85153410
	s_mov_b64 exec, s[20:21]                                   // 000000008240: BEFE0114
	global_atomic_add_f32 v6, v67, s[8:9] offset:8             // 000000008244: DD348008 00084306
	global_atomic_add_f32 v6, v71, s[8:9] offset:264           // 00000000824C: DD348108 00084706
	s_mov_b64 exec, s[16:17]                                   // 000000008254: BEFE0110
	v_mov_b32_e32 v6, v84                                      // 000000008258: 7E0C0354
	s_mov_b64 s[52:53], 0                                      // 00000000825C: BEB40180
	v_readlane_b32 s72, v3, 8                                  // 000000008260: D2890048 00011103
	s_cmp_lt_u32 s72, s62                                      // 000000008268: BF0A3E48
	s_cselect_b32 s20, s16, s52                                // 00000000826C: 85143410
	v_readlane_b32 s72, v3, 9                                  // 000000008270: D2890048 00011303
	s_cmp_lt_u32 s72, s62                                      // 000000008278: BF0A3E48
	s_cselect_b32 s21, s16, s52                                // 00000000827C: 85153410
	s_mov_b64 exec, s[20:21]                                   // 000000008280: BEFE0114
	global_atomic_add_f32 v6, v74, s[8:9] offset:8             // 000000008284: DD348008 00084A06
	global_atomic_add_f32 v6, v78, s[8:9] offset:264           // 00000000828C: DD348108 00084E06
	s_mov_b64 exec, s[16:17]                                   // 000000008294: BEFE0110
	v_mov_b32_e32 v6, v85                                      // 000000008298: 7E0C0355
	s_mov_b64 s[52:53], 0                                      // 00000000829C: BEB40180
	v_readlane_b32 s72, v3, 10                                 // 0000000082A0: D2890048 00011503
	s_cmp_lt_u32 s72, s62                                      // 0000000082A8: BF0A3E48
	s_cselect_b32 s20, s16, s52                                // 0000000082AC: 85143410
	v_readlane_b32 s72, v3, 11                                 // 0000000082B0: D2890048 00011703
	s_cmp_lt_u32 s72, s62                                      // 0000000082B8: BF0A3E48
	s_cselect_b32 s21, s16, s52                                // 0000000082BC: 85153410
	s_mov_b64 exec, s[20:21]                                   // 0000000082C0: BEFE0114
	global_atomic_add_f32 v6, v75, s[8:9] offset:8             // 0000000082C4: DD348008 00084B06
	global_atomic_add_f32 v6, v79, s[8:9] offset:264           // 0000000082CC: DD348108 00084F06
	s_mov_b64 exec, s[16:17]                                   // 0000000082D4: BEFE0110
	v_mov_b32_e32 v6, v86                                      // 0000000082D8: 7E0C0356
	s_mov_b64 s[52:53], 0                                      // 0000000082DC: BEB40180
	v_readlane_b32 s72, v3, 12                                 // 0000000082E0: D2890048 00011903
	s_cmp_lt_u32 s72, s62                                      // 0000000082E8: BF0A3E48
	s_cselect_b32 s20, s16, s52                                // 0000000082EC: 85143410
	v_readlane_b32 s72, v3, 13                                 // 0000000082F0: D2890048 00011B03
	s_cmp_lt_u32 s72, s62                                      // 0000000082F8: BF0A3E48
	s_cselect_b32 s21, s16, s52                                // 0000000082FC: 85153410
	s_mov_b64 exec, s[20:21]                                   // 000000008300: BEFE0114
	global_atomic_add_f32 v6, v82, s[8:9] offset:8             // 000000008304: DD348008 00085206
	global_atomic_add_f32 v6, v86, s[8:9] offset:264           // 00000000830C: DD348108 00085606
	s_mov_b64 exec, s[16:17]                                   // 000000008314: BEFE0110
	v_mov_b32_e32 v6, v87                                      // 000000008318: 7E0C0357
	s_mov_b64 s[52:53], 0                                      // 00000000831C: BEB40180
	v_readlane_b32 s72, v3, 14                                 // 000000008320: D2890048 00011D03
	s_cmp_lt_u32 s72, s62                                      // 000000008328: BF0A3E48
	s_cselect_b32 s20, s16, s52                                // 00000000832C: 85143410
	v_readlane_b32 s72, v3, 15                                 // 000000008330: D2890048 00011F03
	s_cmp_lt_u32 s72, s62                                      // 000000008338: BF0A3E48
	s_cselect_b32 s21, s16, s52                                // 00000000833C: 85153410
	s_mov_b64 exec, s[20:21]                                   // 000000008340: BEFE0114
	global_atomic_add_f32 v6, v83, s[8:9] offset:8             // 000000008344: DD348008 00085306
	global_atomic_add_f32 v6, v87, s[8:9] offset:264           // 00000000834C: DD348108 00085706
	s_mov_b64 exec, s[16:17]                                   // 000000008354: BEFE0110
	v_mov_b32_e32 v6, v88                                      // 000000008358: 7E0C0358
	s_mov_b64 s[52:53], 0                                      // 00000000835C: BEB40180
	v_readlane_b32 s72, v3, 16                                 // 000000008360: D2890048 00012103
	s_cmp_lt_u32 s72, s62                                      // 000000008368: BF0A3E48
	s_cselect_b32 s20, s16, s52                                // 00000000836C: 85143410
	v_readlane_b32 s72, v3, 17                                 // 000000008370: D2890048 00012303
	s_cmp_lt_u32 s72, s62                                      // 000000008378: BF0A3E48
	s_cselect_b32 s21, s16, s52                                // 00000000837C: 85153410
	s_mov_b64 exec, s[20:21]                                   // 000000008380: BEFE0114
	global_atomic_add_f32 v6, v90, s[8:9] offset:8             // 000000008384: DD348008 00085A06
	global_atomic_add_f32 v6, v94, s[8:9] offset:264           // 00000000838C: DD348108 00085E06
	s_mov_b64 exec, s[16:17]                                   // 000000008394: BEFE0110
	v_mov_b32_e32 v6, v89                                      // 000000008398: 7E0C0359
	s_mov_b64 s[52:53], 0                                      // 00000000839C: BEB40180
	v_readlane_b32 s72, v3, 18                                 // 0000000083A0: D2890048 00012503
	s_cmp_lt_u32 s72, s62                                      // 0000000083A8: BF0A3E48
	s_cselect_b32 s20, s16, s52                                // 0000000083AC: 85143410
	v_readlane_b32 s72, v3, 19                                 // 0000000083B0: D2890048 00012703
	s_cmp_lt_u32 s72, s62                                      // 0000000083B8: BF0A3E48
	s_cselect_b32 s21, s16, s52                                // 0000000083BC: 85153410
	s_mov_b64 exec, s[20:21]                                   // 0000000083C0: BEFE0114
	global_atomic_add_f32 v6, v91, s[8:9] offset:8             // 0000000083C4: DD348008 00085B06
	global_atomic_add_f32 v6, v95, s[8:9] offset:264           // 0000000083CC: DD348108 00085F06
	s_mov_b64 exec, s[16:17]                                   // 0000000083D4: BEFE0110
	v_mov_b32_e32 v6, v90                                      // 0000000083D8: 7E0C035A
	s_mov_b64 s[52:53], 0                                      // 0000000083DC: BEB40180
	v_readlane_b32 s72, v3, 20                                 // 0000000083E0: D2890048 00012903
	s_cmp_lt_u32 s72, s62                                      // 0000000083E8: BF0A3E48
	s_cselect_b32 s20, s16, s52                                // 0000000083EC: 85143410
	v_readlane_b32 s72, v3, 21                                 // 0000000083F0: D2890048 00012B03
	s_cmp_lt_u32 s72, s62                                      // 0000000083F8: BF0A3E48
	s_cselect_b32 s21, s16, s52                                // 0000000083FC: 85153410
	s_mov_b64 exec, s[20:21]                                   // 000000008400: BEFE0114
	global_atomic_add_f32 v6, v98, s[8:9] offset:8             // 000000008404: DD348008 00086206
	global_atomic_add_f32 v6, v102, s[8:9] offset:264          // 00000000840C: DD348108 00086606
	s_mov_b64 exec, s[16:17]                                   // 000000008414: BEFE0110
	v_mov_b32_e32 v6, v91                                      // 000000008418: 7E0C035B
	s_mov_b64 s[52:53], 0                                      // 00000000841C: BEB40180
	v_readlane_b32 s72, v3, 22                                 // 000000008420: D2890048 00012D03
	s_cmp_lt_u32 s72, s62                                      // 000000008428: BF0A3E48
	s_cselect_b32 s20, s16, s52                                // 00000000842C: 85143410
	v_readlane_b32 s72, v3, 23                                 // 000000008430: D2890048 00012F03
	s_cmp_lt_u32 s72, s62                                      // 000000008438: BF0A3E48
	s_cselect_b32 s21, s16, s52                                // 00000000843C: 85153410
	s_mov_b64 exec, s[20:21]                                   // 000000008440: BEFE0114
	global_atomic_add_f32 v6, v99, s[8:9] offset:8             // 000000008444: DD348008 00086306
	global_atomic_add_f32 v6, v103, s[8:9] offset:264          // 00000000844C: DD348108 00086706
	s_mov_b64 exec, s[16:17]                                   // 000000008454: BEFE0110
	ds_write_b64 v16, v[104:105]                               // 000000008458: D89A0000 00006810
	ds_write_b64 v16, v[108:109] offset:4352                   // 000000008460: D89A1100 00006C10
	ds_write_b64 v16, v[112:113] offset:8704                   // 000000008468: D89A2200 00007010
	ds_write_b64 v16, v[116:117] offset:13056                  // 000000008470: D89A3300 00007410
	ds_write_b64 v16, v[120:121] offset:17408                  // 000000008478: D89A4400 00007810
	ds_write_b64 v16, v[124:125] offset:21760                  // 000000008480: D89A5500 00007C10
	ds_write_b64 v16, v[128:129] offset:2176                   // 000000008488: D89A0880 00008010
	ds_write_b64 v16, v[132:133] offset:6528                   // 000000008490: D89A1980 00008410
	ds_write_b64 v16, v[136:137] offset:10880                  // 000000008498: D89A2A80 00008810
	ds_write_b64 v16, v[140:141] offset:15232                  // 0000000084A0: D89A3B80 00008C10
	ds_write_b64 v16, v[144:145] offset:19584                  // 0000000084A8: D89A4C80 00009010
	ds_write_b64 v16, v[148:149] offset:23936                  // 0000000084B0: D89A5D80 00009410
	s_waitcnt lgkmcnt(0)                                       // 0000000084B8: BF8CC07F
	s_barrier                                                  // 0000000084BC: BF8A0000
	ds_read_b32 v104, v17                                      // 0000000084C0: D86C0000 68000011
	ds_read_b32 v105, v17 offset:64                            // 0000000084C8: D86C0040 69000011
	ds_read_b32 v108, v17 offset:2176                          // 0000000084D0: D86C0880 6C000011
	ds_read_b32 v109, v17 offset:2240                          // 0000000084D8: D86C08C0 6D000011
	ds_read_b32 v112, v17 offset:4352                          // 0000000084E0: D86C1100 70000011
	ds_read_b32 v113, v17 offset:4416                          // 0000000084E8: D86C1140 71000011
	ds_read_b32 v116, v17 offset:6528                          // 0000000084F0: D86C1980 74000011
	ds_read_b32 v117, v17 offset:6592                          // 0000000084F8: D86C19C0 75000011
	ds_read_b32 v120, v17 offset:8704                          // 000000008500: D86C2200 78000011
	ds_read_b32 v121, v17 offset:8768                          // 000000008508: D86C2240 79000011
	ds_read_b32 v124, v17 offset:10880                         // 000000008510: D86C2A80 7C000011
	ds_read_b32 v125, v17 offset:10944                         // 000000008518: D86C2AC0 7D000011
	ds_read_b32 v128, v17 offset:13056                         // 000000008520: D86C3300 80000011
	ds_read_b32 v129, v17 offset:13120                         // 000000008528: D86C3340 81000011
	ds_read_b32 v132, v17 offset:15232                         // 000000008530: D86C3B80 84000011
	ds_read_b32 v133, v17 offset:15296                         // 000000008538: D86C3BC0 85000011
	ds_read_b32 v136, v17 offset:17408                         // 000000008540: D86C4400 88000011
	ds_read_b32 v137, v17 offset:17472                         // 000000008548: D86C4440 89000011
	ds_read_b32 v140, v17 offset:19584                         // 000000008550: D86C4C80 8C000011
	ds_read_b32 v141, v17 offset:19648                         // 000000008558: D86C4CC0 8D000011
	ds_read_b32 v144, v17 offset:21760                         // 000000008560: D86C5500 90000011
	ds_read_b32 v145, v17 offset:21824                         // 000000008568: D86C5540 91000011
	ds_read_b32 v148, v17 offset:23936                         // 000000008570: D86C5D80 94000011
	ds_read_b32 v149, v17 offset:24000                         // 000000008578: D86C5DC0 95000011
	s_mul_i32 s52, s61, 4                                      // 000000008580: 9234843D
	s_add_u32 s8, s52, s8                                      // 000000008584: 80080834
	s_addc_u32 s9, 0, s9                                       // 000000008588: 82090980
	s_waitcnt lgkmcnt(0)                                       // 00000000858C: BF8CC07F
	v_mov_b32_e32 v7, 0                                        // 000000008590: 7E0E0280
	s_mov_b64 exec, s[16:17]                                   // 000000008594: BEFE0110
	v_mov_b32_e32 v6, v80                                      // 000000008598: 7E0C0350
	s_mov_b64 s[52:53], 0                                      // 00000000859C: BEB40180
	v_readlane_b32 s72, v3, 0                                  // 0000000085A0: D2890048 00010103
	s_cmp_lt_u32 s72, s62                                      // 0000000085A8: BF0A3E48
	s_cselect_b32 s20, s16, s52                                // 0000000085AC: 85143410
	v_readlane_b32 s72, v3, 1                                  // 0000000085B0: D2890048 00010303
	s_cmp_lt_u32 s72, s62                                      // 0000000085B8: BF0A3E48
	s_cselect_b32 s21, s16, s52                                // 0000000085BC: 85153410
	s_mov_b64 exec, s[20:21]                                   // 0000000085C0: BEFE0114
	global_atomic_add_f32 v6, v104, s[8:9]                     // 0000000085C4: DD348000 00086806
	global_atomic_add_f32 v6, v108, s[8:9] offset:256          // 0000000085CC: DD348100 00086C06
	s_mov_b64 exec, s[16:17]                                   // 0000000085D4: BEFE0110
	v_mov_b32_e32 v6, v81                                      // 0000000085D8: 7E0C0351
	s_mov_b64 s[52:53], 0                                      // 0000000085DC: BEB40180
	v_readlane_b32 s72, v3, 2                                  // 0000000085E0: D2890048 00010503
	s_cmp_lt_u32 s72, s62                                      // 0000000085E8: BF0A3E48
	s_cselect_b32 s20, s16, s52                                // 0000000085EC: 85143410
	v_readlane_b32 s72, v3, 3                                  // 0000000085F0: D2890048 00010703
	s_cmp_lt_u32 s72, s62                                      // 0000000085F8: BF0A3E48
	s_cselect_b32 s21, s16, s52                                // 0000000085FC: 85153410
	s_mov_b64 exec, s[20:21]                                   // 000000008600: BEFE0114
	global_atomic_add_f32 v6, v105, s[8:9]                     // 000000008604: DD348000 00086906
	global_atomic_add_f32 v6, v109, s[8:9] offset:256          // 00000000860C: DD348100 00086D06
	s_mov_b64 exec, s[16:17]                                   // 000000008614: BEFE0110
	v_mov_b32_e32 v6, v82                                      // 000000008618: 7E0C0352
	s_mov_b64 s[52:53], 0                                      // 00000000861C: BEB40180
	v_readlane_b32 s72, v3, 4                                  // 000000008620: D2890048 00010903
	s_cmp_lt_u32 s72, s62                                      // 000000008628: BF0A3E48
	s_cselect_b32 s20, s16, s52                                // 00000000862C: 85143410
	v_readlane_b32 s72, v3, 5                                  // 000000008630: D2890048 00010B03
	s_cmp_lt_u32 s72, s62                                      // 000000008638: BF0A3E48
	s_cselect_b32 s21, s16, s52                                // 00000000863C: 85153410
	s_mov_b64 exec, s[20:21]                                   // 000000008640: BEFE0114
	global_atomic_add_f32 v6, v112, s[8:9]                     // 000000008644: DD348000 00087006
	global_atomic_add_f32 v6, v116, s[8:9] offset:256          // 00000000864C: DD348100 00087406
	s_mov_b64 exec, s[16:17]                                   // 000000008654: BEFE0110
	v_mov_b32_e32 v6, v83                                      // 000000008658: 7E0C0353
	s_mov_b64 s[52:53], 0                                      // 00000000865C: BEB40180
	v_readlane_b32 s72, v3, 6                                  // 000000008660: D2890048 00010D03
	s_cmp_lt_u32 s72, s62                                      // 000000008668: BF0A3E48
	s_cselect_b32 s20, s16, s52                                // 00000000866C: 85143410
	v_readlane_b32 s72, v3, 7                                  // 000000008670: D2890048 00010F03
	s_cmp_lt_u32 s72, s62                                      // 000000008678: BF0A3E48
	s_cselect_b32 s21, s16, s52                                // 00000000867C: 85153410
	s_mov_b64 exec, s[20:21]                                   // 000000008680: BEFE0114
	global_atomic_add_f32 v6, v113, s[8:9]                     // 000000008684: DD348000 00087106
	global_atomic_add_f32 v6, v117, s[8:9] offset:256          // 00000000868C: DD348100 00087506
	s_mov_b64 exec, s[16:17]                                   // 000000008694: BEFE0110
	v_mov_b32_e32 v6, v84                                      // 000000008698: 7E0C0354
	s_mov_b64 s[52:53], 0                                      // 00000000869C: BEB40180
	v_readlane_b32 s72, v3, 8                                  // 0000000086A0: D2890048 00011103
	s_cmp_lt_u32 s72, s62                                      // 0000000086A8: BF0A3E48
	s_cselect_b32 s20, s16, s52                                // 0000000086AC: 85143410
	v_readlane_b32 s72, v3, 9                                  // 0000000086B0: D2890048 00011303
	s_cmp_lt_u32 s72, s62                                      // 0000000086B8: BF0A3E48
	s_cselect_b32 s21, s16, s52                                // 0000000086BC: 85153410
	s_mov_b64 exec, s[20:21]                                   // 0000000086C0: BEFE0114
	global_atomic_add_f32 v6, v120, s[8:9]                     // 0000000086C4: DD348000 00087806
	global_atomic_add_f32 v6, v124, s[8:9] offset:256          // 0000000086CC: DD348100 00087C06
	s_mov_b64 exec, s[16:17]                                   // 0000000086D4: BEFE0110
	v_mov_b32_e32 v6, v85                                      // 0000000086D8: 7E0C0355
	s_mov_b64 s[52:53], 0                                      // 0000000086DC: BEB40180
	v_readlane_b32 s72, v3, 10                                 // 0000000086E0: D2890048 00011503
	s_cmp_lt_u32 s72, s62                                      // 0000000086E8: BF0A3E48
	s_cselect_b32 s20, s16, s52                                // 0000000086EC: 85143410
	v_readlane_b32 s72, v3, 11                                 // 0000000086F0: D2890048 00011703
	s_cmp_lt_u32 s72, s62                                      // 0000000086F8: BF0A3E48
	s_cselect_b32 s21, s16, s52                                // 0000000086FC: 85153410
	s_mov_b64 exec, s[20:21]                                   // 000000008700: BEFE0114
	global_atomic_add_f32 v6, v121, s[8:9]                     // 000000008704: DD348000 00087906
	global_atomic_add_f32 v6, v125, s[8:9] offset:256          // 00000000870C: DD348100 00087D06
	s_mov_b64 exec, s[16:17]                                   // 000000008714: BEFE0110
	v_mov_b32_e32 v6, v86                                      // 000000008718: 7E0C0356
	s_mov_b64 s[52:53], 0                                      // 00000000871C: BEB40180
	v_readlane_b32 s72, v3, 12                                 // 000000008720: D2890048 00011903
	s_cmp_lt_u32 s72, s62                                      // 000000008728: BF0A3E48
	s_cselect_b32 s20, s16, s52                                // 00000000872C: 85143410
	v_readlane_b32 s72, v3, 13                                 // 000000008730: D2890048 00011B03
	s_cmp_lt_u32 s72, s62                                      // 000000008738: BF0A3E48
	s_cselect_b32 s21, s16, s52                                // 00000000873C: 85153410
	s_mov_b64 exec, s[20:21]                                   // 000000008740: BEFE0114
	global_atomic_add_f32 v6, v128, s[8:9]                     // 000000008744: DD348000 00088006
	global_atomic_add_f32 v6, v132, s[8:9] offset:256          // 00000000874C: DD348100 00088406
	s_mov_b64 exec, s[16:17]                                   // 000000008754: BEFE0110
	v_mov_b32_e32 v6, v87                                      // 000000008758: 7E0C0357
	s_mov_b64 s[52:53], 0                                      // 00000000875C: BEB40180
	v_readlane_b32 s72, v3, 14                                 // 000000008760: D2890048 00011D03
	s_cmp_lt_u32 s72, s62                                      // 000000008768: BF0A3E48
	s_cselect_b32 s20, s16, s52                                // 00000000876C: 85143410
	v_readlane_b32 s72, v3, 15                                 // 000000008770: D2890048 00011F03
	s_cmp_lt_u32 s72, s62                                      // 000000008778: BF0A3E48
	s_cselect_b32 s21, s16, s52                                // 00000000877C: 85153410
	s_mov_b64 exec, s[20:21]                                   // 000000008780: BEFE0114
	global_atomic_add_f32 v6, v129, s[8:9]                     // 000000008784: DD348000 00088106
	global_atomic_add_f32 v6, v133, s[8:9] offset:256          // 00000000878C: DD348100 00088506
	s_mov_b64 exec, s[16:17]                                   // 000000008794: BEFE0110
	v_mov_b32_e32 v6, v88                                      // 000000008798: 7E0C0358
	s_mov_b64 s[52:53], 0                                      // 00000000879C: BEB40180
	v_readlane_b32 s72, v3, 16                                 // 0000000087A0: D2890048 00012103
	s_cmp_lt_u32 s72, s62                                      // 0000000087A8: BF0A3E48
	s_cselect_b32 s20, s16, s52                                // 0000000087AC: 85143410
	v_readlane_b32 s72, v3, 17                                 // 0000000087B0: D2890048 00012303
	s_cmp_lt_u32 s72, s62                                      // 0000000087B8: BF0A3E48
	s_cselect_b32 s21, s16, s52                                // 0000000087BC: 85153410
	s_mov_b64 exec, s[20:21]                                   // 0000000087C0: BEFE0114
	global_atomic_add_f32 v6, v136, s[8:9]                     // 0000000087C4: DD348000 00088806
	global_atomic_add_f32 v6, v140, s[8:9] offset:256          // 0000000087CC: DD348100 00088C06
	s_mov_b64 exec, s[16:17]                                   // 0000000087D4: BEFE0110
	v_mov_b32_e32 v6, v89                                      // 0000000087D8: 7E0C0359
	s_mov_b64 s[52:53], 0                                      // 0000000087DC: BEB40180
	v_readlane_b32 s72, v3, 18                                 // 0000000087E0: D2890048 00012503
	s_cmp_lt_u32 s72, s62                                      // 0000000087E8: BF0A3E48
	s_cselect_b32 s20, s16, s52                                // 0000000087EC: 85143410
	v_readlane_b32 s72, v3, 19                                 // 0000000087F0: D2890048 00012703
	s_cmp_lt_u32 s72, s62                                      // 0000000087F8: BF0A3E48
	s_cselect_b32 s21, s16, s52                                // 0000000087FC: 85153410
	s_mov_b64 exec, s[20:21]                                   // 000000008800: BEFE0114
	global_atomic_add_f32 v6, v137, s[8:9]                     // 000000008804: DD348000 00088906
	global_atomic_add_f32 v6, v141, s[8:9] offset:256          // 00000000880C: DD348100 00088D06
	s_mov_b64 exec, s[16:17]                                   // 000000008814: BEFE0110
	v_mov_b32_e32 v6, v90                                      // 000000008818: 7E0C035A
	s_mov_b64 s[52:53], 0                                      // 00000000881C: BEB40180
	v_readlane_b32 s72, v3, 20                                 // 000000008820: D2890048 00012903
	s_cmp_lt_u32 s72, s62                                      // 000000008828: BF0A3E48
	s_cselect_b32 s20, s16, s52                                // 00000000882C: 85143410
	v_readlane_b32 s72, v3, 21                                 // 000000008830: D2890048 00012B03
	s_cmp_lt_u32 s72, s62                                      // 000000008838: BF0A3E48
	s_cselect_b32 s21, s16, s52                                // 00000000883C: 85153410
	s_mov_b64 exec, s[20:21]                                   // 000000008840: BEFE0114
	global_atomic_add_f32 v6, v144, s[8:9]                     // 000000008844: DD348000 00089006
	global_atomic_add_f32 v6, v148, s[8:9] offset:256          // 00000000884C: DD348100 00089406
	s_mov_b64 exec, s[16:17]                                   // 000000008854: BEFE0110
	v_mov_b32_e32 v6, v91                                      // 000000008858: 7E0C035B
	s_mov_b64 s[52:53], 0                                      // 00000000885C: BEB40180
	v_readlane_b32 s72, v3, 22                                 // 000000008860: D2890048 00012D03
	s_cmp_lt_u32 s72, s62                                      // 000000008868: BF0A3E48
	s_cselect_b32 s20, s16, s52                                // 00000000886C: 85143410
	v_readlane_b32 s72, v3, 23                                 // 000000008870: D2890048 00012F03
	s_cmp_lt_u32 s72, s62                                      // 000000008878: BF0A3E48
	s_cselect_b32 s21, s16, s52                                // 00000000887C: 85153410
	s_mov_b64 exec, s[20:21]                                   // 000000008880: BEFE0114
	global_atomic_add_f32 v6, v145, s[8:9]                     // 000000008884: DD348000 00089106
	global_atomic_add_f32 v6, v149, s[8:9] offset:256          // 00000000888C: DD348100 00089506
	s_mov_b64 exec, s[16:17]                                   // 000000008894: BEFE0110
	ds_write_b64 v16, v[106:107]                               // 000000008898: D89A0000 00006A10
	ds_write_b64 v16, v[110:111] offset:4352                   // 0000000088A0: D89A1100 00006E10
	ds_write_b64 v16, v[114:115] offset:8704                   // 0000000088A8: D89A2200 00007210
	ds_write_b64 v16, v[118:119] offset:13056                  // 0000000088B0: D89A3300 00007610
	ds_write_b64 v16, v[122:123] offset:17408                  // 0000000088B8: D89A4400 00007A10
	ds_write_b64 v16, v[126:127] offset:21760                  // 0000000088C0: D89A5500 00007E10
	ds_write_b64 v16, v[130:131] offset:2176                   // 0000000088C8: D89A0880 00008210
	ds_write_b64 v16, v[134:135] offset:6528                   // 0000000088D0: D89A1980 00008610
	ds_write_b64 v16, v[138:139] offset:10880                  // 0000000088D8: D89A2A80 00008A10
	ds_write_b64 v16, v[142:143] offset:15232                  // 0000000088E0: D89A3B80 00008E10
	ds_write_b64 v16, v[146:147] offset:19584                  // 0000000088E8: D89A4C80 00009210
	ds_write_b64 v16, v[150:151] offset:23936                  // 0000000088F0: D89A5D80 00009610
	s_waitcnt lgkmcnt(0)                                       // 0000000088F8: BF8CC07F
	s_barrier                                                  // 0000000088FC: BF8A0000
	ds_read_b32 v106, v17                                      // 000000008900: D86C0000 6A000011
	ds_read_b32 v107, v17 offset:64                            // 000000008908: D86C0040 6B000011
	ds_read_b32 v110, v17 offset:2176                          // 000000008910: D86C0880 6E000011
	ds_read_b32 v111, v17 offset:2240                          // 000000008918: D86C08C0 6F000011
	ds_read_b32 v114, v17 offset:4352                          // 000000008920: D86C1100 72000011
	ds_read_b32 v115, v17 offset:4416                          // 000000008928: D86C1140 73000011
	ds_read_b32 v118, v17 offset:6528                          // 000000008930: D86C1980 76000011
	ds_read_b32 v119, v17 offset:6592                          // 000000008938: D86C19C0 77000011
	ds_read_b32 v122, v17 offset:8704                          // 000000008940: D86C2200 7A000011
	ds_read_b32 v123, v17 offset:8768                          // 000000008948: D86C2240 7B000011
	ds_read_b32 v126, v17 offset:10880                         // 000000008950: D86C2A80 7E000011
	ds_read_b32 v127, v17 offset:10944                         // 000000008958: D86C2AC0 7F000011
	ds_read_b32 v130, v17 offset:13056                         // 000000008960: D86C3300 82000011
	ds_read_b32 v131, v17 offset:13120                         // 000000008968: D86C3340 83000011
	ds_read_b32 v134, v17 offset:15232                         // 000000008970: D86C3B80 86000011
	ds_read_b32 v135, v17 offset:15296                         // 000000008978: D86C3BC0 87000011
	ds_read_b32 v138, v17 offset:17408                         // 000000008980: D86C4400 8A000011
	ds_read_b32 v139, v17 offset:17472                         // 000000008988: D86C4440 8B000011
	ds_read_b32 v142, v17 offset:19584                         // 000000008990: D86C4C80 8E000011
	ds_read_b32 v143, v17 offset:19648                         // 000000008998: D86C4CC0 8F000011
	ds_read_b32 v146, v17 offset:21760                         // 0000000089A0: D86C5500 92000011
	ds_read_b32 v147, v17 offset:21824                         // 0000000089A8: D86C5540 93000011
	ds_read_b32 v150, v17 offset:23936                         // 0000000089B0: D86C5D80 96000011
	ds_read_b32 v151, v17 offset:24000                         // 0000000089B8: D86C5DC0 97000011
	s_waitcnt lgkmcnt(0)                                       // 0000000089C0: BF8CC07F
	v_mov_b32_e32 v7, 0                                        // 0000000089C4: 7E0E0280
	s_mov_b64 exec, s[16:17]                                   // 0000000089C8: BEFE0110
	v_mov_b32_e32 v6, v80                                      // 0000000089CC: 7E0C0350
	s_mov_b64 s[52:53], 0                                      // 0000000089D0: BEB40180
	v_readlane_b32 s72, v3, 0                                  // 0000000089D4: D2890048 00010103
	s_cmp_lt_u32 s72, s62                                      // 0000000089DC: BF0A3E48
	s_cselect_b32 s20, s16, s52                                // 0000000089E0: 85143410
	v_readlane_b32 s72, v3, 1                                  // 0000000089E4: D2890048 00010303
	s_cmp_lt_u32 s72, s62                                      // 0000000089EC: BF0A3E48
	s_cselect_b32 s21, s16, s52                                // 0000000089F0: 85153410
	s_mov_b64 exec, s[20:21]                                   // 0000000089F4: BEFE0114
	global_atomic_add_f32 v6, v106, s[8:9] offset:8            // 0000000089F8: DD348008 00086A06
	global_atomic_add_f32 v6, v110, s[8:9] offset:264          // 000000008A00: DD348108 00086E06
	s_mov_b64 exec, s[16:17]                                   // 000000008A08: BEFE0110
	v_mov_b32_e32 v6, v81                                      // 000000008A0C: 7E0C0351
	s_mov_b64 s[52:53], 0                                      // 000000008A10: BEB40180
	v_readlane_b32 s72, v3, 2                                  // 000000008A14: D2890048 00010503
	s_cmp_lt_u32 s72, s62                                      // 000000008A1C: BF0A3E48
	s_cselect_b32 s20, s16, s52                                // 000000008A20: 85143410
	v_readlane_b32 s72, v3, 3                                  // 000000008A24: D2890048 00010703
	s_cmp_lt_u32 s72, s62                                      // 000000008A2C: BF0A3E48
	s_cselect_b32 s21, s16, s52                                // 000000008A30: 85153410
	s_mov_b64 exec, s[20:21]                                   // 000000008A34: BEFE0114
	global_atomic_add_f32 v6, v107, s[8:9] offset:8            // 000000008A38: DD348008 00086B06
	global_atomic_add_f32 v6, v111, s[8:9] offset:264          // 000000008A40: DD348108 00086F06
	s_mov_b64 exec, s[16:17]                                   // 000000008A48: BEFE0110
	v_mov_b32_e32 v6, v82                                      // 000000008A4C: 7E0C0352
	s_mov_b64 s[52:53], 0                                      // 000000008A50: BEB40180
	v_readlane_b32 s72, v3, 4                                  // 000000008A54: D2890048 00010903
	s_cmp_lt_u32 s72, s62                                      // 000000008A5C: BF0A3E48
	s_cselect_b32 s20, s16, s52                                // 000000008A60: 85143410
	v_readlane_b32 s72, v3, 5                                  // 000000008A64: D2890048 00010B03
	s_cmp_lt_u32 s72, s62                                      // 000000008A6C: BF0A3E48
	s_cselect_b32 s21, s16, s52                                // 000000008A70: 85153410
	s_mov_b64 exec, s[20:21]                                   // 000000008A74: BEFE0114
	global_atomic_add_f32 v6, v114, s[8:9] offset:8            // 000000008A78: DD348008 00087206
	global_atomic_add_f32 v6, v118, s[8:9] offset:264          // 000000008A80: DD348108 00087606
	s_mov_b64 exec, s[16:17]                                   // 000000008A88: BEFE0110
	v_mov_b32_e32 v6, v83                                      // 000000008A8C: 7E0C0353
	s_mov_b64 s[52:53], 0                                      // 000000008A90: BEB40180
	v_readlane_b32 s72, v3, 6                                  // 000000008A94: D2890048 00010D03
	s_cmp_lt_u32 s72, s62                                      // 000000008A9C: BF0A3E48
	s_cselect_b32 s20, s16, s52                                // 000000008AA0: 85143410
	v_readlane_b32 s72, v3, 7                                  // 000000008AA4: D2890048 00010F03
	s_cmp_lt_u32 s72, s62                                      // 000000008AAC: BF0A3E48
	s_cselect_b32 s21, s16, s52                                // 000000008AB0: 85153410
	s_mov_b64 exec, s[20:21]                                   // 000000008AB4: BEFE0114
	global_atomic_add_f32 v6, v115, s[8:9] offset:8            // 000000008AB8: DD348008 00087306
	global_atomic_add_f32 v6, v119, s[8:9] offset:264          // 000000008AC0: DD348108 00087706
	s_mov_b64 exec, s[16:17]                                   // 000000008AC8: BEFE0110
	v_mov_b32_e32 v6, v84                                      // 000000008ACC: 7E0C0354
	s_mov_b64 s[52:53], 0                                      // 000000008AD0: BEB40180
	v_readlane_b32 s72, v3, 8                                  // 000000008AD4: D2890048 00011103
	s_cmp_lt_u32 s72, s62                                      // 000000008ADC: BF0A3E48
	s_cselect_b32 s20, s16, s52                                // 000000008AE0: 85143410
	v_readlane_b32 s72, v3, 9                                  // 000000008AE4: D2890048 00011303
	s_cmp_lt_u32 s72, s62                                      // 000000008AEC: BF0A3E48
	s_cselect_b32 s21, s16, s52                                // 000000008AF0: 85153410
	s_mov_b64 exec, s[20:21]                                   // 000000008AF4: BEFE0114
	global_atomic_add_f32 v6, v122, s[8:9] offset:8            // 000000008AF8: DD348008 00087A06
	global_atomic_add_f32 v6, v126, s[8:9] offset:264          // 000000008B00: DD348108 00087E06
	s_mov_b64 exec, s[16:17]                                   // 000000008B08: BEFE0110
	v_mov_b32_e32 v6, v85                                      // 000000008B0C: 7E0C0355
	s_mov_b64 s[52:53], 0                                      // 000000008B10: BEB40180
	v_readlane_b32 s72, v3, 10                                 // 000000008B14: D2890048 00011503
	s_cmp_lt_u32 s72, s62                                      // 000000008B1C: BF0A3E48
	s_cselect_b32 s20, s16, s52                                // 000000008B20: 85143410
	v_readlane_b32 s72, v3, 11                                 // 000000008B24: D2890048 00011703
	s_cmp_lt_u32 s72, s62                                      // 000000008B2C: BF0A3E48
	s_cselect_b32 s21, s16, s52                                // 000000008B30: 85153410
	s_mov_b64 exec, s[20:21]                                   // 000000008B34: BEFE0114
	global_atomic_add_f32 v6, v123, s[8:9] offset:8            // 000000008B38: DD348008 00087B06
	global_atomic_add_f32 v6, v127, s[8:9] offset:264          // 000000008B40: DD348108 00087F06
	s_mov_b64 exec, s[16:17]                                   // 000000008B48: BEFE0110
	v_mov_b32_e32 v6, v86                                      // 000000008B4C: 7E0C0356
	s_mov_b64 s[52:53], 0                                      // 000000008B50: BEB40180
	v_readlane_b32 s72, v3, 12                                 // 000000008B54: D2890048 00011903
	s_cmp_lt_u32 s72, s62                                      // 000000008B5C: BF0A3E48
	s_cselect_b32 s20, s16, s52                                // 000000008B60: 85143410
	v_readlane_b32 s72, v3, 13                                 // 000000008B64: D2890048 00011B03
	s_cmp_lt_u32 s72, s62                                      // 000000008B6C: BF0A3E48
	s_cselect_b32 s21, s16, s52                                // 000000008B70: 85153410
	s_mov_b64 exec, s[20:21]                                   // 000000008B74: BEFE0114
	global_atomic_add_f32 v6, v130, s[8:9] offset:8            // 000000008B78: DD348008 00088206
	global_atomic_add_f32 v6, v134, s[8:9] offset:264          // 000000008B80: DD348108 00088606
	s_mov_b64 exec, s[16:17]                                   // 000000008B88: BEFE0110
	v_mov_b32_e32 v6, v87                                      // 000000008B8C: 7E0C0357
	s_mov_b64 s[52:53], 0                                      // 000000008B90: BEB40180
	v_readlane_b32 s72, v3, 14                                 // 000000008B94: D2890048 00011D03
	s_cmp_lt_u32 s72, s62                                      // 000000008B9C: BF0A3E48
	s_cselect_b32 s20, s16, s52                                // 000000008BA0: 85143410
	v_readlane_b32 s72, v3, 15                                 // 000000008BA4: D2890048 00011F03
	s_cmp_lt_u32 s72, s62                                      // 000000008BAC: BF0A3E48
	s_cselect_b32 s21, s16, s52                                // 000000008BB0: 85153410
	s_mov_b64 exec, s[20:21]                                   // 000000008BB4: BEFE0114
	global_atomic_add_f32 v6, v131, s[8:9] offset:8            // 000000008BB8: DD348008 00088306
	global_atomic_add_f32 v6, v135, s[8:9] offset:264          // 000000008BC0: DD348108 00088706
	s_mov_b64 exec, s[16:17]                                   // 000000008BC8: BEFE0110
	v_mov_b32_e32 v6, v88                                      // 000000008BCC: 7E0C0358
	s_mov_b64 s[52:53], 0                                      // 000000008BD0: BEB40180
	v_readlane_b32 s72, v3, 16                                 // 000000008BD4: D2890048 00012103
	s_cmp_lt_u32 s72, s62                                      // 000000008BDC: BF0A3E48
	s_cselect_b32 s20, s16, s52                                // 000000008BE0: 85143410
	v_readlane_b32 s72, v3, 17                                 // 000000008BE4: D2890048 00012303
	s_cmp_lt_u32 s72, s62                                      // 000000008BEC: BF0A3E48
	s_cselect_b32 s21, s16, s52                                // 000000008BF0: 85153410
	s_mov_b64 exec, s[20:21]                                   // 000000008BF4: BEFE0114
	global_atomic_add_f32 v6, v138, s[8:9] offset:8            // 000000008BF8: DD348008 00088A06
	global_atomic_add_f32 v6, v142, s[8:9] offset:264          // 000000008C00: DD348108 00088E06
	s_mov_b64 exec, s[16:17]                                   // 000000008C08: BEFE0110
	v_mov_b32_e32 v6, v89                                      // 000000008C0C: 7E0C0359
	s_mov_b64 s[52:53], 0                                      // 000000008C10: BEB40180
	v_readlane_b32 s72, v3, 18                                 // 000000008C14: D2890048 00012503
	s_cmp_lt_u32 s72, s62                                      // 000000008C1C: BF0A3E48
	s_cselect_b32 s20, s16, s52                                // 000000008C20: 85143410
	v_readlane_b32 s72, v3, 19                                 // 000000008C24: D2890048 00012703
	s_cmp_lt_u32 s72, s62                                      // 000000008C2C: BF0A3E48
	s_cselect_b32 s21, s16, s52                                // 000000008C30: 85153410
	s_mov_b64 exec, s[20:21]                                   // 000000008C34: BEFE0114
	global_atomic_add_f32 v6, v139, s[8:9] offset:8            // 000000008C38: DD348008 00088B06
	global_atomic_add_f32 v6, v143, s[8:9] offset:264          // 000000008C40: DD348108 00088F06
	s_mov_b64 exec, s[16:17]                                   // 000000008C48: BEFE0110
	v_mov_b32_e32 v6, v90                                      // 000000008C4C: 7E0C035A
	s_mov_b64 s[52:53], 0                                      // 000000008C50: BEB40180
	v_readlane_b32 s72, v3, 20                                 // 000000008C54: D2890048 00012903
	s_cmp_lt_u32 s72, s62                                      // 000000008C5C: BF0A3E48
	s_cselect_b32 s20, s16, s52                                // 000000008C60: 85143410
	v_readlane_b32 s72, v3, 21                                 // 000000008C64: D2890048 00012B03
	s_cmp_lt_u32 s72, s62                                      // 000000008C6C: BF0A3E48
	s_cselect_b32 s21, s16, s52                                // 000000008C70: 85153410
	s_mov_b64 exec, s[20:21]                                   // 000000008C74: BEFE0114
	global_atomic_add_f32 v6, v146, s[8:9] offset:8            // 000000008C78: DD348008 00089206
	global_atomic_add_f32 v6, v150, s[8:9] offset:264          // 000000008C80: DD348108 00089606
	s_mov_b64 exec, s[16:17]                                   // 000000008C88: BEFE0110
	v_mov_b32_e32 v6, v91                                      // 000000008C8C: 7E0C035B
	s_mov_b64 s[52:53], 0                                      // 000000008C90: BEB40180
	v_readlane_b32 s72, v3, 22                                 // 000000008C94: D2890048 00012D03
	s_cmp_lt_u32 s72, s62                                      // 000000008C9C: BF0A3E48
	s_cselect_b32 s20, s16, s52                                // 000000008CA0: 85143410
	v_readlane_b32 s72, v3, 23                                 // 000000008CA4: D2890048 00012F03
	s_cmp_lt_u32 s72, s62                                      // 000000008CAC: BF0A3E48
	s_cselect_b32 s21, s16, s52                                // 000000008CB0: 85153410
	s_mov_b64 exec, s[20:21]                                   // 000000008CB4: BEFE0114
	global_atomic_add_f32 v6, v147, s[8:9] offset:8            // 000000008CB8: DD348008 00089306
	global_atomic_add_f32 v6, v151, s[8:9] offset:264          // 000000008CC0: DD348108 00089706
	s_mov_b64 exec, s[16:17]                                   // 000000008CC8: BEFE0110
	s_branch label_18F7                                        // 000000008CCC: BF820000

0000000000008cd0 <label_18F7>:
	s_waitcnt vmcnt(0) expcnt(0) lgkmcnt(0)                    // 000000008CD0: BF8C0000
	s_endpgm                                                   // 000000008CD4: BF810000
